;; amdgpu-corpus repo=ROCm/rocFFT kind=compiled arch=gfx1030 opt=O3
	.text
	.amdgcn_target "amdgcn-amd-amdhsa--gfx1030"
	.amdhsa_code_object_version 6
	.protected	fft_rtc_back_len1020_factors_2_17_2_3_5_wgs_204_tpt_68_halfLds_sp_op_CI_CI_unitstride_sbrr_C2R_dirReg ; -- Begin function fft_rtc_back_len1020_factors_2_17_2_3_5_wgs_204_tpt_68_halfLds_sp_op_CI_CI_unitstride_sbrr_C2R_dirReg
	.globl	fft_rtc_back_len1020_factors_2_17_2_3_5_wgs_204_tpt_68_halfLds_sp_op_CI_CI_unitstride_sbrr_C2R_dirReg
	.p2align	8
	.type	fft_rtc_back_len1020_factors_2_17_2_3_5_wgs_204_tpt_68_halfLds_sp_op_CI_CI_unitstride_sbrr_C2R_dirReg,@function
fft_rtc_back_len1020_factors_2_17_2_3_5_wgs_204_tpt_68_halfLds_sp_op_CI_CI_unitstride_sbrr_C2R_dirReg: ; @fft_rtc_back_len1020_factors_2_17_2_3_5_wgs_204_tpt_68_halfLds_sp_op_CI_CI_unitstride_sbrr_C2R_dirReg
; %bb.0:
	s_load_dwordx4 s[12:15], s[4:5], 0x0
	v_mul_u32_u24_e32 v1, 0x3c4, v0
	s_clause 0x1
	s_load_dwordx4 s[8:11], s[4:5], 0x58
	s_load_dwordx4 s[16:19], s[4:5], 0x18
	v_mov_b32_e32 v5, 0
	v_lshrrev_b32_e32 v3, 16, v1
	v_mov_b32_e32 v1, 0
	v_mov_b32_e32 v2, 0
	v_mad_u64_u32 v[3:4], null, s6, 3, v[3:4]
	v_mov_b32_e32 v4, v5
	v_mov_b32_e32 v25, v2
	;; [unrolled: 1-line block ×5, first 2 shown]
	s_waitcnt lgkmcnt(0)
	v_cmp_lt_u64_e64 s0, s[14:15], 2
	s_and_b32 vcc_lo, exec_lo, s0
	s_cbranch_vccnz .LBB0_8
; %bb.1:
	s_load_dwordx2 s[0:1], s[4:5], 0x10
	v_mov_b32_e32 v1, 0
	v_mov_b32_e32 v2, 0
	s_add_u32 s2, s18, 8
	v_mov_b32_e32 v8, v4
	s_addc_u32 s3, s19, 0
	v_mov_b32_e32 v7, v3
	v_mov_b32_e32 v25, v2
	s_add_u32 s6, s16, 8
	v_mov_b32_e32 v24, v1
	s_addc_u32 s7, s17, 0
	s_mov_b64 s[22:23], 1
	s_waitcnt lgkmcnt(0)
	s_add_u32 s20, s0, 8
	s_addc_u32 s21, s1, 0
.LBB0_2:                                ; =>This Inner Loop Header: Depth=1
	s_load_dwordx2 s[24:25], s[20:21], 0x0
                                        ; implicit-def: $vgpr28_vgpr29
	s_mov_b32 s0, exec_lo
	s_waitcnt lgkmcnt(0)
	v_or_b32_e32 v6, s25, v8
	v_cmpx_ne_u64_e32 0, v[5:6]
	s_xor_b32 s1, exec_lo, s0
	s_cbranch_execz .LBB0_4
; %bb.3:                                ;   in Loop: Header=BB0_2 Depth=1
	v_cvt_f32_u32_e32 v4, s24
	v_cvt_f32_u32_e32 v6, s25
	s_sub_u32 s0, 0, s24
	s_subb_u32 s26, 0, s25
	v_fmac_f32_e32 v4, 0x4f800000, v6
	v_rcp_f32_e32 v4, v4
	v_mul_f32_e32 v4, 0x5f7ffffc, v4
	v_mul_f32_e32 v6, 0x2f800000, v4
	v_trunc_f32_e32 v6, v6
	v_fmac_f32_e32 v4, 0xcf800000, v6
	v_cvt_u32_f32_e32 v6, v6
	v_cvt_u32_f32_e32 v4, v4
	v_mul_lo_u32 v9, s0, v6
	v_mul_hi_u32 v10, s0, v4
	v_mul_lo_u32 v11, s26, v4
	v_add_nc_u32_e32 v9, v10, v9
	v_mul_lo_u32 v10, s0, v4
	v_add_nc_u32_e32 v9, v9, v11
	v_mul_hi_u32 v11, v4, v10
	v_mul_lo_u32 v12, v4, v9
	v_mul_hi_u32 v13, v4, v9
	v_mul_hi_u32 v14, v6, v10
	v_mul_lo_u32 v10, v6, v10
	v_mul_hi_u32 v15, v6, v9
	v_mul_lo_u32 v9, v6, v9
	v_add_co_u32 v11, vcc_lo, v11, v12
	v_add_co_ci_u32_e32 v12, vcc_lo, 0, v13, vcc_lo
	v_add_co_u32 v10, vcc_lo, v11, v10
	v_add_co_ci_u32_e32 v10, vcc_lo, v12, v14, vcc_lo
	v_add_co_ci_u32_e32 v11, vcc_lo, 0, v15, vcc_lo
	v_add_co_u32 v9, vcc_lo, v10, v9
	v_add_co_ci_u32_e32 v10, vcc_lo, 0, v11, vcc_lo
	v_add_co_u32 v4, vcc_lo, v4, v9
	v_add_co_ci_u32_e32 v6, vcc_lo, v6, v10, vcc_lo
	v_mul_hi_u32 v9, s0, v4
	v_mul_lo_u32 v11, s26, v4
	v_mul_lo_u32 v10, s0, v6
	v_add_nc_u32_e32 v9, v9, v10
	v_mul_lo_u32 v10, s0, v4
	v_add_nc_u32_e32 v9, v9, v11
	v_mul_hi_u32 v11, v4, v10
	v_mul_lo_u32 v12, v4, v9
	v_mul_hi_u32 v13, v4, v9
	v_mul_hi_u32 v14, v6, v10
	v_mul_lo_u32 v10, v6, v10
	v_mul_hi_u32 v15, v6, v9
	v_mul_lo_u32 v9, v6, v9
	v_add_co_u32 v11, vcc_lo, v11, v12
	v_add_co_ci_u32_e32 v12, vcc_lo, 0, v13, vcc_lo
	v_add_co_u32 v10, vcc_lo, v11, v10
	v_add_co_ci_u32_e32 v10, vcc_lo, v12, v14, vcc_lo
	v_add_co_ci_u32_e32 v11, vcc_lo, 0, v15, vcc_lo
	v_add_co_u32 v9, vcc_lo, v10, v9
	v_add_co_ci_u32_e32 v10, vcc_lo, 0, v11, vcc_lo
	v_add_co_u32 v4, vcc_lo, v4, v9
	v_add_co_ci_u32_e32 v6, vcc_lo, v6, v10, vcc_lo
	v_mul_hi_u32 v15, v7, v4
	v_mad_u64_u32 v[11:12], null, v8, v4, 0
	v_mad_u64_u32 v[9:10], null, v7, v6, 0
	;; [unrolled: 1-line block ×3, first 2 shown]
	v_add_co_u32 v4, vcc_lo, v15, v9
	v_add_co_ci_u32_e32 v6, vcc_lo, 0, v10, vcc_lo
	v_add_co_u32 v4, vcc_lo, v4, v11
	v_add_co_ci_u32_e32 v4, vcc_lo, v6, v12, vcc_lo
	v_add_co_ci_u32_e32 v6, vcc_lo, 0, v14, vcc_lo
	v_add_co_u32 v4, vcc_lo, v4, v13
	v_add_co_ci_u32_e32 v6, vcc_lo, 0, v6, vcc_lo
	v_mul_lo_u32 v11, s25, v4
	v_mad_u64_u32 v[9:10], null, s24, v4, 0
	v_mul_lo_u32 v12, s24, v6
	v_sub_co_u32 v9, vcc_lo, v7, v9
	v_add3_u32 v10, v10, v12, v11
	v_sub_nc_u32_e32 v11, v8, v10
	v_subrev_co_ci_u32_e64 v11, s0, s25, v11, vcc_lo
	v_add_co_u32 v12, s0, v4, 2
	v_add_co_ci_u32_e64 v13, s0, 0, v6, s0
	v_sub_co_u32 v14, s0, v9, s24
	v_sub_co_ci_u32_e32 v10, vcc_lo, v8, v10, vcc_lo
	v_subrev_co_ci_u32_e64 v11, s0, 0, v11, s0
	v_cmp_le_u32_e32 vcc_lo, s24, v14
	v_cmp_eq_u32_e64 s0, s25, v10
	v_cndmask_b32_e64 v14, 0, -1, vcc_lo
	v_cmp_le_u32_e32 vcc_lo, s25, v11
	v_cndmask_b32_e64 v15, 0, -1, vcc_lo
	v_cmp_le_u32_e32 vcc_lo, s24, v9
	;; [unrolled: 2-line block ×3, first 2 shown]
	v_cndmask_b32_e64 v16, 0, -1, vcc_lo
	v_cmp_eq_u32_e32 vcc_lo, s25, v11
	v_cndmask_b32_e64 v9, v16, v9, s0
	v_cndmask_b32_e32 v11, v15, v14, vcc_lo
	v_add_co_u32 v14, vcc_lo, v4, 1
	v_add_co_ci_u32_e32 v15, vcc_lo, 0, v6, vcc_lo
	v_cmp_ne_u32_e32 vcc_lo, 0, v11
	v_cndmask_b32_e32 v10, v15, v13, vcc_lo
	v_cndmask_b32_e32 v11, v14, v12, vcc_lo
	v_cmp_ne_u32_e32 vcc_lo, 0, v9
	v_cndmask_b32_e32 v29, v6, v10, vcc_lo
	v_cndmask_b32_e32 v28, v4, v11, vcc_lo
.LBB0_4:                                ;   in Loop: Header=BB0_2 Depth=1
	s_andn2_saveexec_b32 s0, s1
	s_cbranch_execz .LBB0_6
; %bb.5:                                ;   in Loop: Header=BB0_2 Depth=1
	v_cvt_f32_u32_e32 v4, s24
	s_sub_i32 s1, 0, s24
	v_mov_b32_e32 v29, v5
	v_rcp_iflag_f32_e32 v4, v4
	v_mul_f32_e32 v4, 0x4f7ffffe, v4
	v_cvt_u32_f32_e32 v4, v4
	v_mul_lo_u32 v6, s1, v4
	v_mul_hi_u32 v6, v4, v6
	v_add_nc_u32_e32 v4, v4, v6
	v_mul_hi_u32 v4, v7, v4
	v_mul_lo_u32 v6, v4, s24
	v_add_nc_u32_e32 v9, 1, v4
	v_sub_nc_u32_e32 v6, v7, v6
	v_subrev_nc_u32_e32 v10, s24, v6
	v_cmp_le_u32_e32 vcc_lo, s24, v6
	v_cndmask_b32_e32 v6, v6, v10, vcc_lo
	v_cndmask_b32_e32 v4, v4, v9, vcc_lo
	v_cmp_le_u32_e32 vcc_lo, s24, v6
	v_add_nc_u32_e32 v9, 1, v4
	v_cndmask_b32_e32 v28, v4, v9, vcc_lo
.LBB0_6:                                ;   in Loop: Header=BB0_2 Depth=1
	s_or_b32 exec_lo, exec_lo, s0
	v_mul_lo_u32 v4, v29, s24
	v_mul_lo_u32 v6, v28, s25
	s_load_dwordx2 s[0:1], s[6:7], 0x0
	v_mad_u64_u32 v[9:10], null, v28, s24, 0
	s_load_dwordx2 s[24:25], s[2:3], 0x0
	s_add_u32 s22, s22, 1
	s_addc_u32 s23, s23, 0
	s_add_u32 s2, s2, 8
	s_addc_u32 s3, s3, 0
	s_add_u32 s6, s6, 8
	v_add3_u32 v4, v10, v6, v4
	v_sub_co_u32 v6, vcc_lo, v7, v9
	s_addc_u32 s7, s7, 0
	s_add_u32 s20, s20, 8
	v_sub_co_ci_u32_e32 v4, vcc_lo, v8, v4, vcc_lo
	s_addc_u32 s21, s21, 0
	s_waitcnt lgkmcnt(0)
	v_mul_lo_u32 v7, s0, v4
	v_mul_lo_u32 v8, s1, v6
	v_mad_u64_u32 v[1:2], null, s0, v6, v[1:2]
	v_mul_lo_u32 v4, s24, v4
	v_mul_lo_u32 v9, s25, v6
	v_mad_u64_u32 v[24:25], null, s24, v6, v[24:25]
	v_cmp_ge_u64_e64 s0, s[22:23], s[14:15]
	v_add3_u32 v2, v8, v2, v7
	v_add3_u32 v25, v9, v25, v4
	s_and_b32 vcc_lo, exec_lo, s0
	s_cbranch_vccnz .LBB0_8
; %bb.7:                                ;   in Loop: Header=BB0_2 Depth=1
	v_mov_b32_e32 v7, v28
	v_mov_b32_e32 v8, v29
	s_branch .LBB0_2
.LBB0_8:
	s_load_dwordx2 s[0:1], s[4:5], 0x28
	v_mul_hi_u32 v4, 0xaaaaaaab, v3
	s_lshl_b64 s[4:5], s[14:15], 3
                                        ; implicit-def: $vgpr26
	s_add_u32 s2, s18, s4
	s_addc_u32 s3, s19, s5
	v_lshrrev_b32_e32 v4, 1, v4
	v_lshl_add_u32 v5, v4, 1, v4
	v_mul_hi_u32 v4, 0x3c3c3c4, v0
	v_sub_nc_u32_e32 v3, v3, v5
	s_waitcnt lgkmcnt(0)
	v_cmp_gt_u64_e32 vcc_lo, s[0:1], v[28:29]
	v_cmp_le_u64_e64 s0, s[0:1], v[28:29]
	s_and_saveexec_b32 s1, s0
	s_xor_b32 s0, exec_lo, s1
; %bb.9:
	v_mul_u32_u24_e32 v1, 0x44, v4
                                        ; implicit-def: $vgpr4
	v_sub_nc_u32_e32 v26, v0, v1
                                        ; implicit-def: $vgpr0
                                        ; implicit-def: $vgpr1_vgpr2
; %bb.10:
	s_or_saveexec_b32 s1, s0
	s_load_dwordx2 s[2:3], s[2:3], 0x0
	v_mul_u32_u24_e32 v3, 0x3fd, v3
	v_lshlrev_b32_e32 v44, 3, v3
	s_xor_b32 exec_lo, exec_lo, s1
	s_cbranch_execz .LBB0_14
; %bb.11:
	s_add_u32 s4, s16, s4
	s_addc_u32 s5, s17, s5
	v_lshlrev_b64 v[1:2], 3, v[1:2]
	s_load_dwordx2 s[4:5], s[4:5], 0x0
	s_waitcnt lgkmcnt(0)
	v_mul_lo_u32 v7, s5, v28
	v_mul_lo_u32 v8, s4, v29
	v_mad_u64_u32 v[5:6], null, s4, v28, 0
	s_mov_b32 s4, exec_lo
	v_add3_u32 v6, v6, v8, v7
	v_mul_u32_u24_e32 v7, 0x44, v4
	v_lshlrev_b64 v[4:5], 3, v[5:6]
	v_sub_nc_u32_e32 v26, v0, v7
	v_lshlrev_b32_e32 v27, 3, v26
	v_add_co_u32 v0, s0, s8, v4
	v_add_co_ci_u32_e64 v4, s0, s9, v5, s0
	v_add_co_u32 v0, s0, v0, v1
	v_add_co_ci_u32_e64 v1, s0, v4, v2, s0
	v_add3_u32 v2, 0, v44, v27
	v_add_co_u32 v4, s0, v0, v27
	v_add_co_ci_u32_e64 v5, s0, 0, v1, s0
	s_clause 0x3
	global_load_dwordx2 v[6:7], v[4:5], off
	global_load_dwordx2 v[8:9], v[4:5], off offset:544
	global_load_dwordx2 v[10:11], v[4:5], off offset:1088
	;; [unrolled: 1-line block ×3, first 2 shown]
	v_add_co_u32 v14, s0, 0x800, v4
	v_add_co_ci_u32_e64 v15, s0, 0, v5, s0
	v_add_co_u32 v16, s0, 0x1000, v4
	v_add_co_ci_u32_e64 v17, s0, 0, v5, s0
	;; [unrolled: 2-line block ×3, first 2 shown]
	s_clause 0xa
	global_load_dwordx2 v[18:19], v[14:15], off offset:128
	global_load_dwordx2 v[20:21], v[14:15], off offset:672
	;; [unrolled: 1-line block ×11, first 2 shown]
	v_add_nc_u32_e32 v27, 0x800, v2
	v_add_nc_u32_e32 v40, 0x1000, v2
	v_add_nc_u32_e32 v41, 0x1800, v2
	s_waitcnt vmcnt(13)
	ds_write2_b64 v2, v[6:7], v[8:9] offset1:68
	s_waitcnt vmcnt(11)
	ds_write2_b64 v2, v[10:11], v[12:13] offset0:136 offset1:204
	s_waitcnt vmcnt(9)
	ds_write2_b64 v27, v[18:19], v[20:21] offset0:16 offset1:84
	;; [unrolled: 2-line block ×6, first 2 shown]
	s_waitcnt vmcnt(0)
	ds_write_b64 v2, v[4:5] offset:7616
	v_cmpx_eq_u32_e32 0x43, v26
	s_cbranch_execz .LBB0_13
; %bb.12:
	v_add_co_u32 v0, s0, 0x1800, v0
	v_add_co_ci_u32_e64 v1, s0, 0, v1, s0
	v_mov_b32_e32 v26, 0x43
	global_load_dwordx2 v[0:1], v[0:1], off offset:2016
	s_waitcnt vmcnt(0)
	ds_write_b64 v2, v[0:1] offset:7624
.LBB0_13:
	s_or_b32 exec_lo, exec_lo, s4
.LBB0_14:
	s_or_b32 exec_lo, exec_lo, s1
	v_lshl_add_u32 v42, v3, 3, 0
	v_lshlrev_b32_e32 v0, 3, v26
	s_waitcnt lgkmcnt(0)
	s_barrier
	buffer_gl0_inv
	s_add_u32 s1, s12, 0x1fd0
	v_add_nc_u32_e32 v43, v42, v0
	v_sub_nc_u32_e32 v4, v42, v0
	s_addc_u32 s4, s13, 0
	s_mov_b32 s5, exec_lo
	ds_read_b32 v5, v43
	ds_read_b32 v6, v4 offset:8160
                                        ; implicit-def: $vgpr2_vgpr3
	s_waitcnt lgkmcnt(0)
	v_add_f32_e32 v0, v6, v5
	v_sub_f32_e32 v1, v5, v6
	v_cmpx_ne_u32_e32 0, v26
	s_xor_b32 s5, exec_lo, s5
	s_cbranch_execz .LBB0_16
; %bb.15:
	v_mov_b32_e32 v27, 0
	v_add_f32_e32 v7, v6, v5
	v_sub_f32_e32 v8, v5, v6
	v_lshlrev_b64 v[0:1], 3, v[26:27]
	v_add_co_u32 v0, s0, s1, v0
	v_add_co_ci_u32_e64 v1, s0, s4, v1, s0
	global_load_dwordx2 v[2:3], v[0:1], off
	ds_read_b32 v0, v4 offset:8164
	ds_read_b32 v1, v43 offset:4
	s_waitcnt lgkmcnt(0)
	v_add_f32_e32 v9, v0, v1
	v_sub_f32_e32 v0, v1, v0
	s_waitcnt vmcnt(0)
	v_fma_f32 v5, -v8, v3, v7
	v_fma_f32 v6, v9, v3, -v0
	v_fma_f32 v10, v8, v3, v7
	v_fma_f32 v1, v9, v3, v0
	v_fmac_f32_e32 v5, v2, v9
	v_fmac_f32_e32 v6, v8, v2
	v_fma_f32 v0, -v2, v9, v10
	v_fmac_f32_e32 v1, v8, v2
	v_mov_b32_e32 v2, v26
	v_mov_b32_e32 v3, v27
	ds_write_b64 v4, v[5:6] offset:8160
.LBB0_16:
	s_andn2_saveexec_b32 s0, s5
	s_cbranch_execz .LBB0_18
; %bb.17:
	ds_read_b64 v[2:3], v42 offset:4080
	s_waitcnt lgkmcnt(0)
	v_add_f32_e32 v5, v2, v2
	v_mul_f32_e32 v6, -2.0, v3
	v_mov_b32_e32 v2, 0
	v_mov_b32_e32 v3, 0
	ds_write_b64 v42, v[5:6] offset:4080
.LBB0_18:
	s_or_b32 exec_lo, exec_lo, s0
	v_lshlrev_b64 v[2:3], 3, v[2:3]
	v_add_co_u32 v2, s0, s1, v2
	v_add_co_ci_u32_e64 v3, s0, s4, v3, s0
	s_clause 0x2
	global_load_dwordx2 v[5:6], v[2:3], off offset:544
	global_load_dwordx2 v[7:8], v[2:3], off offset:1088
	global_load_dwordx2 v[9:10], v[2:3], off offset:1632
	v_add_co_u32 v2, s0, 0x800, v2
	v_add_co_ci_u32_e64 v3, s0, 0, v3, s0
	v_cmp_gt_u32_e64 s0, 34, v26
	s_clause 0x2
	global_load_dwordx2 v[11:12], v[2:3], off offset:128
	global_load_dwordx2 v[13:14], v[2:3], off offset:672
	;; [unrolled: 1-line block ×3, first 2 shown]
	ds_write_b64 v43, v[0:1]
	ds_read_b64 v[0:1], v43 offset:544
	ds_read_b64 v[17:18], v4 offset:7616
	s_waitcnt lgkmcnt(0)
	v_add_f32_e32 v19, v0, v17
	v_add_f32_e32 v20, v18, v1
	v_sub_f32_e32 v21, v0, v17
	v_sub_f32_e32 v0, v1, v18
	s_waitcnt vmcnt(5)
	v_fma_f32 v22, v21, v6, v19
	v_fma_f32 v1, v20, v6, v0
	v_fma_f32 v17, -v21, v6, v19
	v_fma_f32 v18, v20, v6, -v0
	v_fma_f32 v0, -v5, v20, v22
	v_fmac_f32_e32 v1, v21, v5
	v_fmac_f32_e32 v17, v5, v20
	v_fmac_f32_e32 v18, v21, v5
	ds_write_b64 v43, v[0:1] offset:544
	ds_write_b64 v4, v[17:18] offset:7616
	ds_read_b64 v[0:1], v43 offset:1088
	ds_read_b64 v[5:6], v4 offset:7072
	s_waitcnt lgkmcnt(0)
	v_add_f32_e32 v17, v0, v5
	v_add_f32_e32 v18, v6, v1
	v_sub_f32_e32 v19, v0, v5
	v_sub_f32_e32 v0, v1, v6
	s_waitcnt vmcnt(4)
	v_fma_f32 v20, v19, v8, v17
	v_fma_f32 v1, v18, v8, v0
	v_fma_f32 v5, -v19, v8, v17
	v_fma_f32 v6, v18, v8, -v0
	v_fma_f32 v0, -v7, v18, v20
	v_fmac_f32_e32 v1, v19, v7
	v_fmac_f32_e32 v5, v7, v18
	v_fmac_f32_e32 v6, v19, v7
	ds_write_b64 v43, v[0:1] offset:1088
	ds_write_b64 v4, v[5:6] offset:7072
	ds_read_b64 v[0:1], v43 offset:1632
	ds_read_b64 v[5:6], v4 offset:6528
	s_waitcnt lgkmcnt(0)
	v_add_f32_e32 v7, v0, v5
	v_add_f32_e32 v8, v6, v1
	v_sub_f32_e32 v17, v0, v5
	v_sub_f32_e32 v0, v1, v6
	s_waitcnt vmcnt(3)
	v_fma_f32 v18, v17, v10, v7
	v_fma_f32 v1, v8, v10, v0
	v_fma_f32 v5, -v17, v10, v7
	v_fma_f32 v6, v8, v10, -v0
	v_fma_f32 v0, -v9, v8, v18
	v_fmac_f32_e32 v1, v17, v9
	v_fmac_f32_e32 v5, v9, v8
	v_fmac_f32_e32 v6, v17, v9
	ds_write_b64 v43, v[0:1] offset:1632
	ds_write_b64 v4, v[5:6] offset:6528
	ds_read_b64 v[0:1], v43 offset:2176
	ds_read_b64 v[5:6], v4 offset:5984
	s_waitcnt lgkmcnt(0)
	v_add_f32_e32 v7, v0, v5
	v_add_f32_e32 v8, v6, v1
	v_sub_f32_e32 v9, v0, v5
	v_sub_f32_e32 v0, v1, v6
	s_waitcnt vmcnt(2)
	v_fma_f32 v10, v9, v12, v7
	v_fma_f32 v1, v8, v12, v0
	v_fma_f32 v5, -v9, v12, v7
	v_fma_f32 v6, v8, v12, -v0
	v_fma_f32 v0, -v11, v8, v10
	v_fmac_f32_e32 v1, v9, v11
	v_fmac_f32_e32 v5, v11, v8
	v_fmac_f32_e32 v6, v9, v11
	ds_write_b64 v43, v[0:1] offset:2176
	ds_write_b64 v4, v[5:6] offset:5984
	ds_read_b64 v[0:1], v43 offset:2720
	ds_read_b64 v[5:6], v4 offset:5440
	s_waitcnt lgkmcnt(0)
	v_add_f32_e32 v7, v0, v5
	v_add_f32_e32 v8, v6, v1
	v_sub_f32_e32 v9, v0, v5
	v_sub_f32_e32 v0, v1, v6
	s_waitcnt vmcnt(1)
	v_fma_f32 v10, v9, v14, v7
	v_fma_f32 v1, v8, v14, v0
	v_fma_f32 v5, -v9, v14, v7
	v_fma_f32 v6, v8, v14, -v0
	v_fma_f32 v0, -v13, v8, v10
	v_fmac_f32_e32 v1, v9, v13
	v_fmac_f32_e32 v5, v13, v8
	v_fmac_f32_e32 v6, v9, v13
	ds_write_b64 v43, v[0:1] offset:2720
	ds_write_b64 v4, v[5:6] offset:5440
	ds_read_b64 v[0:1], v43 offset:3264
	ds_read_b64 v[5:6], v4 offset:4896
	s_waitcnt lgkmcnt(0)
	v_add_f32_e32 v7, v0, v5
	v_add_f32_e32 v8, v6, v1
	v_sub_f32_e32 v9, v0, v5
	v_sub_f32_e32 v0, v1, v6
	s_waitcnt vmcnt(0)
	v_fma_f32 v10, v9, v16, v7
	v_fma_f32 v1, v8, v16, v0
	v_fma_f32 v5, -v9, v16, v7
	v_fma_f32 v6, v8, v16, -v0
	v_fma_f32 v0, -v15, v8, v10
	v_fmac_f32_e32 v1, v9, v15
	v_fmac_f32_e32 v5, v15, v8
	v_fmac_f32_e32 v6, v9, v15
	ds_write_b64 v43, v[0:1] offset:3264
	ds_write_b64 v4, v[5:6] offset:4896
	s_and_saveexec_b32 s1, s0
	s_cbranch_execz .LBB0_20
; %bb.19:
	global_load_dwordx2 v[0:1], v[2:3], off offset:1760
	ds_read_b64 v[2:3], v43 offset:3808
	ds_read_b64 v[5:6], v4 offset:4352
	s_waitcnt lgkmcnt(0)
	v_add_f32_e32 v7, v2, v5
	v_add_f32_e32 v8, v6, v3
	v_sub_f32_e32 v9, v2, v5
	v_sub_f32_e32 v3, v3, v6
	s_waitcnt vmcnt(0)
	v_fma_f32 v10, v9, v1, v7
	v_fma_f32 v2, v8, v1, v3
	v_fma_f32 v5, -v9, v1, v7
	v_fma_f32 v6, v8, v1, -v3
	v_fma_f32 v1, -v0, v8, v10
	v_fmac_f32_e32 v2, v9, v0
	v_fmac_f32_e32 v5, v0, v8
	;; [unrolled: 1-line block ×3, first 2 shown]
	ds_write_b64 v43, v[1:2] offset:3808
	ds_write_b64 v4, v[5:6] offset:4352
.LBB0_20:
	s_or_b32 exec_lo, exec_lo, s1
	v_lshl_add_u32 v0, v26, 3, 0
	s_waitcnt lgkmcnt(0)
	s_barrier
	buffer_gl0_inv
	v_add_nc_u32_e32 v27, v0, v44
	s_barrier
	buffer_gl0_inv
	v_add_nc_u32_e32 v46, 0x44, v26
	v_add_nc_u32_e32 v45, 0x88, v26
	;; [unrolled: 1-line block ×6, first 2 shown]
	ds_read2_b64 v[0:3], v27 offset0:68 offset1:136
	ds_read2_b64 v[34:37], v16 offset0:220 offset1:254
	ds_read_b64 v[18:19], v43
	ds_read2_b64 v[4:7], v4 offset0:66 offset1:134
	ds_read2_b64 v[8:11], v8 offset0:76 offset1:144
	;; [unrolled: 1-line block ×3, first 2 shown]
	v_add_nc_u32_e32 v17, 0x1800, v27
	ds_read2_b64 v[50:53], v16 offset0:84 offset1:152
	ds_read2_b64 v[54:57], v17 offset0:82 offset1:150
	ds_read_b64 v[58:59], v27 offset:7888
	v_add_nc_u32_e32 v48, 0xcc, v26
	v_add_nc_u32_e32 v47, 0x110, v26
	v_add_nc_u32_e32 v40, 0x154, v26
	v_add_nc_u32_e32 v49, 0x198, v26
	s_waitcnt lgkmcnt(0)
	s_barrier
	buffer_gl0_inv
	v_add_nc_u32_e32 v41, 0x1dc, v26
	v_sub_f32_e32 v16, v2, v6
	v_sub_f32_e32 v17, v3, v7
	;; [unrolled: 1-line block ×5, first 2 shown]
	v_fma_f32 v36, v2, 2.0, -v16
	v_lshlrev_b32_e32 v2, 4, v26
	v_sub_f32_e32 v23, v1, v5
	v_fma_f32 v37, v3, 2.0, -v17
	v_lshlrev_b32_e32 v3, 4, v46
	v_fma_f32 v4, v18, 2.0, -v32
	v_fma_f32 v5, v19, 2.0, -v33
	v_add3_u32 v2, 0, v2, v44
	v_fma_f32 v38, v0, 2.0, -v22
	v_fma_f32 v39, v1, 2.0, -v23
	v_add3_u32 v3, 0, v3, v44
	v_sub_f32_e32 v6, v8, v12
	v_sub_f32_e32 v20, v10, v14
	;; [unrolled: 1-line block ×10, first 2 shown]
	ds_write2_b64 v2, v[4:5], v[32:33] offset1:1
	ds_write2_b64 v3, v[38:39], v[22:23] offset1:1
	v_lshlrev_b32_e32 v2, 4, v45
	v_lshlrev_b32_e32 v3, 4, v48
	v_fma_f32 v30, v8, 2.0, -v6
	v_fma_f32 v8, v10, 2.0, -v20
	;; [unrolled: 1-line block ×3, first 2 shown]
	v_lshlrev_b32_e32 v50, 4, v47
	v_fma_f32 v31, v9, 2.0, -v7
	v_fma_f32 v9, v11, 2.0, -v21
	;; [unrolled: 1-line block ×3, first 2 shown]
	v_lshlrev_b32_e32 v51, 4, v40
	v_fma_f32 v12, v52, 2.0, -v14
	v_lshlrev_b32_e32 v52, 4, v49
	v_fma_f32 v13, v53, 2.0, -v15
	v_fma_f32 v34, v34, 2.0, -v0
	;; [unrolled: 1-line block ×3, first 2 shown]
	v_add3_u32 v2, 0, v2, v44
	v_add3_u32 v3, 0, v3, v44
	v_add3_u32 v50, 0, v50, v44
	v_add3_u32 v51, 0, v51, v44
	v_add3_u32 v52, 0, v52, v44
	ds_write2_b64 v2, v[36:37], v[16:17] offset1:1
	ds_write2_b64 v3, v[30:31], v[6:7] offset1:1
	;; [unrolled: 1-line block ×5, first 2 shown]
	s_and_saveexec_b32 s1, s0
	s_cbranch_execz .LBB0_22
; %bb.21:
	v_lshlrev_b32_e32 v2, 4, v41
	v_add3_u32 v2, 0, v2, v44
	ds_write2_b64 v2, v[34:35], v[0:1] offset1:1
.LBB0_22:
	s_or_b32 exec_lo, exec_lo, s1
	v_cmp_gt_u32_e64 s1, 60, v26
	s_waitcnt lgkmcnt(0)
	s_barrier
	buffer_gl0_inv
                                        ; implicit-def: $vgpr3
	s_and_saveexec_b32 s4, s1
	s_cbranch_execz .LBB0_24
; %bb.23:
	v_add_nc_u32_e32 v10, 0x800, v27
	v_add_nc_u32_e32 v0, 0x1000, v27
	;; [unrolled: 1-line block ×3, first 2 shown]
	ds_read2_b64 v[6:9], v10 offset0:164 offset1:224
	ds_read2_b64 v[16:19], v0 offset0:28 offset1:88
	;; [unrolled: 1-line block ×5, first 2 shown]
	ds_read_b64 v[4:5], v43
	ds_read2_b64 v[50:53], v27 offset0:60 offset1:120
	ds_read2_b64 v[36:39], v10 offset0:44 offset1:104
	;; [unrolled: 1-line block ×3, first 2 shown]
	s_waitcnt lgkmcnt(7)
	v_mov_b32_e32 v11, v19
	v_mov_b32_e32 v10, v18
	s_waitcnt lgkmcnt(6)
	v_mov_b32_e32 v13, v23
	v_mov_b32_e32 v12, v22
	;; [unrolled: 3-line block ×3, first 2 shown]
	v_mov_b32_e32 v15, v31
	v_mov_b32_e32 v14, v30
	;; [unrolled: 1-line block ×6, first 2 shown]
	s_waitcnt lgkmcnt(1)
	v_mov_b32_e32 v31, v39
	v_mov_b32_e32 v30, v38
	;; [unrolled: 1-line block ×4, first 2 shown]
	s_waitcnt lgkmcnt(0)
	v_mov_b32_e32 v37, v57
	v_mov_b32_e32 v36, v56
	;; [unrolled: 1-line block ×8, first 2 shown]
.LBB0_24:
	s_or_b32 exec_lo, exec_lo, s4
	v_and_b32_e32 v50, 1, v26
	v_lshlrev_b32_e32 v51, 7, v50
	s_clause 0x7
	global_load_dwordx4 v[66:69], v51, s[12:13]
	global_load_dwordx4 v[73:76], v51, s[12:13] offset:16
	global_load_dwordx4 v[77:80], v51, s[12:13] offset:32
	;; [unrolled: 1-line block ×7, first 2 shown]
	s_waitcnt vmcnt(0)
	s_barrier
	buffer_gl0_inv
	v_mul_f32_e32 v51, v32, v67
	v_mul_f32_e32 v70, v23, v74
	v_mul_f32_e32 v63, v22, v74
	v_mul_f32_e32 v65, v17, v78
	v_mul_f32_e32 v74, v16, v78
	v_mul_f32_e32 v62, v7, v86
	v_mul_f32_e32 v78, v6, v86
	v_mul_f32_e32 v61, v9, v88
	v_mul_f32_e32 v86, v8, v88
	v_mul_f32_e32 v60, v21, v90
	v_mul_f32_e32 v88, v20, v90
	v_mul_f32_e32 v59, v11, v92
	v_mul_f32_e32 v90, v10, v92
	v_mul_f32_e32 v58, v19, v94
	v_mul_f32_e32 v92, v18, v94
	v_mul_f32_e32 v54, v13, v96
	v_mul_f32_e32 v94, v12, v96
	v_mul_f32_e32 v56, v15, v98
	v_mul_f32_e32 v96, v14, v98
	v_mul_f32_e32 v55, v35, v100
	v_mul_f32_e32 v98, v34, v100
	v_mul_f32_e32 v53, v1, v102
	v_mul_f32_e32 v100, v0, v102
	v_mul_f32_e32 v102, v2, v104
	v_mul_f32_e32 v72, v33, v67
	v_mul_f32_e32 v71, v39, v69
	v_mul_f32_e32 v52, v38, v69
	v_mul_f32_e32 v69, v36, v76
	v_mul_f32_e32 v57, v3, v104
	v_fma_f32 v84, v33, v66, -v51
	v_fma_f32 v82, v23, v73, -v63
	v_fma_f32 v63, v3, v103, -v102
	v_mul_f32_e32 v67, v37, v76
	v_mul_f32_e32 v64, v31, v80
	;; [unrolled: 1-line block ×3, first 2 shown]
	v_fmac_f32_e32 v72, v32, v66
	v_fma_f32 v83, v39, v68, -v52
	v_fma_f32 v81, v37, v75, -v69
	v_fmac_f32_e32 v62, v6, v85
	v_fma_f32 v78, v7, v85, -v78
	v_fma_f32 v69, v15, v97, -v96
	v_fmac_f32_e32 v57, v2, v103
	v_fma_f32 v66, v1, v101, -v100
	v_add_f32_e32 v96, v84, v63
	v_sub_f32_e32 v85, v84, v63
	v_fmac_f32_e32 v71, v38, v68
	v_fmac_f32_e32 v65, v16, v77
	v_fma_f32 v80, v17, v77, -v74
	v_fmac_f32_e32 v64, v30, v79
	v_fma_f32 v79, v31, v79, -v76
	v_fma_f32 v77, v9, v87, -v86
	;; [unrolled: 1-line block ×3, first 2 shown]
	v_fmac_f32_e32 v56, v14, v97
	v_fma_f32 v68, v35, v99, -v98
	v_fmac_f32_e32 v53, v0, v101
	v_add_f32_e32 v16, v72, v57
	v_sub_f32_e32 v21, v72, v57
	v_add_f32_e32 v97, v83, v66
	v_sub_f32_e32 v86, v83, v66
	v_mul_f32_e32 v111, 0xbf2c7751, v85
	v_mul_f32_e32 v117, 0x3f3d2fb0, v96
	;; [unrolled: 1-line block ×4, first 2 shown]
	v_fmac_f32_e32 v70, v22, v73
	v_fmac_f32_e32 v61, v8, v87
	;; [unrolled: 1-line block ×4, first 2 shown]
	v_add_f32_e32 v17, v71, v53
	v_sub_f32_e32 v18, v71, v53
	v_add_f32_e32 v98, v82, v68
	v_sub_f32_e32 v87, v82, v68
	v_mul_f32_e32 v110, 0xbf7ee86f, v86
	v_mul_f32_e32 v116, 0x3dbcf732, v97
	;; [unrolled: 1-line block ×4, first 2 shown]
	v_fma_f32 v0, 0x3f3d2fb0, v16, -v111
	v_fmamk_f32 v1, v21, 0xbf2c7751, v117
	v_fma_f32 v122, 0x3ee437d1, v16, -v132
	v_fmamk_f32 v125, v21, 0xbf65296c, v145
	v_fmac_f32_e32 v67, v36, v75
	v_fmac_f32_e32 v60, v20, v89
	v_fma_f32 v74, v19, v93, -v92
	v_fma_f32 v73, v13, v95, -v94
	v_add_f32_e32 v19, v70, v55
	v_sub_f32_e32 v20, v70, v55
	v_sub_f32_e32 v88, v81, v69
	v_add_f32_e32 v100, v81, v69
	v_mul_f32_e32 v108, 0xbf4c4adb, v87
	v_mul_f32_e32 v115, 0xbf1a4643, v98
	;; [unrolled: 1-line block ×4, first 2 shown]
	v_fma_f32 v2, 0x3dbcf732, v17, -v110
	v_fmamk_f32 v3, v18, 0xbf7ee86f, v116
	v_fma_f32 v123, 0xbf1a4643, v17, -v130
	v_fmamk_f32 v126, v18, 0xbf4c4adb, v143
	v_add_f32_e32 v0, v4, v0
	v_add_f32_e32 v1, v5, v1
	;; [unrolled: 1-line block ×4, first 2 shown]
	v_fmac_f32_e32 v54, v12, v95
	v_add_f32_e32 v22, v67, v56
	v_sub_f32_e32 v34, v67, v56
	v_sub_f32_e32 v89, v80, v73
	v_add_f32_e32 v99, v80, v73
	v_mul_f32_e32 v107, 0xbe3c28d5, v88
	v_mul_f32_e32 v113, 0xbf7ba420, v100
	;; [unrolled: 1-line block ×4, first 2 shown]
	v_fma_f32 v6, 0xbf1a4643, v19, -v108
	v_fmamk_f32 v7, v20, 0xbf4c4adb, v115
	v_fma_f32 v127, 0xbf7ba420, v19, -v128
	v_fmamk_f32 v129, v20, 0x3e3c28d5, v15
	v_add_f32_e32 v0, v2, v0
	v_add_f32_e32 v1, v3, v1
	;; [unrolled: 1-line block ×4, first 2 shown]
	v_fma_f32 v75, v11, v91, -v90
	v_add_f32_e32 v23, v65, v54
	v_sub_f32_e32 v36, v65, v54
	v_sub_f32_e32 v90, v79, v74
	v_add_f32_e32 v95, v79, v74
	v_mul_f32_e32 v105, 0x3f06c442, v89
	v_mul_f32_e32 v112, 0xbf59a7d5, v99
	;; [unrolled: 1-line block ×4, first 2 shown]
	v_fma_f32 v8, 0xbf7ba420, v22, -v107
	v_fmamk_f32 v9, v34, 0xbe3c28d5, v113
	v_fma_f32 v131, 0xbe8c1d8e, v22, -v14
	v_fmamk_f32 v133, v34, 0x3f763a35, v141
	v_add_f32_e32 v0, v6, v0
	v_add_f32_e32 v1, v7, v1
	;; [unrolled: 1-line block ×4, first 2 shown]
	v_fmac_f32_e32 v59, v10, v91
	v_add_f32_e32 v35, v64, v58
	v_sub_f32_e32 v37, v64, v58
	v_sub_f32_e32 v91, v78, v75
	v_add_f32_e32 v93, v78, v75
	v_mul_f32_e32 v104, 0x3f763a35, v90
	v_mul_f32_e32 v109, 0xbe8c1d8e, v95
	;; [unrolled: 1-line block ×4, first 2 shown]
	v_fma_f32 v10, 0xbf59a7d5, v23, -v105
	v_fmamk_f32 v11, v36, 0x3f06c442, v112
	v_fma_f32 v134, 0x3f3d2fb0, v23, -v121
	v_fmamk_f32 v135, v36, 0x3f2c7751, v140
	v_add_f32_e32 v0, v8, v0
	v_add_f32_e32 v1, v9, v1
	;; [unrolled: 1-line block ×5, first 2 shown]
	v_sub_f32_e32 v39, v62, v59
	v_sub_f32_e32 v92, v77, v76
	v_add_f32_e32 v94, v77, v76
	v_mul_f32_e32 v103, 0x3f65296c, v91
	v_mul_f32_e32 v106, 0x3ee437d1, v93
	;; [unrolled: 1-line block ×4, first 2 shown]
	v_fma_f32 v12, 0xbe8c1d8e, v35, -v104
	v_fmamk_f32 v13, v37, 0x3f763a35, v109
	v_fma_f32 v136, 0x3f6eb680, v35, -v120
	v_fmamk_f32 v122, v37, 0xbeb8f4ab, v137
	v_add_f32_e32 v0, v10, v0
	v_add_f32_e32 v1, v11, v1
	;; [unrolled: 1-line block ×5, first 2 shown]
	v_sub_f32_e32 v52, v61, v60
	v_mul_f32_e32 v101, 0x3eb8f4ab, v92
	v_mul_f32_e32 v102, 0x3f6eb680, v94
	;; [unrolled: 1-line block ×4, first 2 shown]
	v_fma_f32 v30, 0x3ee437d1, v38, -v103
	v_fmamk_f32 v31, v39, 0x3f65296c, v106
	v_fma_f32 v6, 0x3dbcf732, v38, -v119
	v_fmamk_f32 v7, v39, 0xbf7ee86f, v124
	v_add_f32_e32 v0, v12, v0
	v_add_f32_e32 v1, v13, v1
	;; [unrolled: 1-line block ×4, first 2 shown]
	v_fma_f32 v32, 0x3f6eb680, v51, -v101
	v_fmamk_f32 v33, v52, 0x3eb8f4ab, v102
	v_fma_f32 v8, 0xbf59a7d5, v51, -v114
	v_fmamk_f32 v9, v52, 0xbf06c442, v118
	v_add_f32_e32 v0, v30, v0
	v_add_f32_e32 v1, v31, v1
	;; [unrolled: 1-line block ×8, first 2 shown]
	s_and_saveexec_b32 s4, s1
	s_cbranch_execz .LBB0_26
; %bb.25:
	v_mul_f32_e32 v10, 0xbf763a35, v21
	v_mul_f32_e32 v11, 0x3f06c442, v18
	;; [unrolled: 1-line block ×5, first 2 shown]
	v_fmamk_f32 v0, v96, 0xbe8c1d8e, v10
	v_fmamk_f32 v2, v97, 0xbf59a7d5, v11
	v_fma_f32 v1, 0xbe8c1d8e, v16, -v13
	v_mul_f32_e32 v161, 0xbf65296c, v34
	v_mul_f32_e32 v164, 0x3f2c7751, v87
	v_add_f32_e32 v0, v5, v0
	v_fma_f32 v3, 0xbf59a7d5, v17, -v162
	v_add_f32_e32 v1, v4, v1
	v_fmamk_f32 v6, v98, 0x3f3d2fb0, v12
	v_mul_f32_e32 v163, 0xbe3c28d5, v36
	v_add_f32_e32 v0, v2, v0
	v_mul_f32_e32 v165, 0xbf65296c, v88
	v_fma_f32 v2, 0x3f3d2fb0, v19, -v164
	v_add_f32_e32 v1, v3, v1
	v_fmamk_f32 v3, v100, 0x3ee437d1, v161
	v_add_f32_e32 v0, v6, v0
	v_mul_f32_e32 v166, 0x3f7ee86f, v37
	v_fma_f32 v6, 0x3ee437d1, v22, -v165
	v_add_f32_e32 v1, v2, v1
	v_mul_f32_e32 v167, 0xbe3c28d5, v89
	v_add_f32_e32 v0, v3, v0
	v_fmamk_f32 v2, v99, 0xbf7ba420, v163
	v_fmamk_f32 v3, v95, 0x3dbcf732, v166
	v_add_f32_e32 v1, v6, v1
	v_mul_f32_e32 v168, 0x3f7ee86f, v90
	v_fma_f32 v6, 0xbf7ba420, v23, -v167
	v_add_f32_e32 v0, v2, v0
	v_mul_f32_e32 v169, 0xbeb8f4ab, v39
	v_mul_f32_e32 v172, 0xbeb8f4ab, v91
	v_fma_f32 v2, 0x3dbcf732, v35, -v168
	v_add_f32_e32 v1, v6, v1
	v_add_f32_e32 v0, v3, v0
	v_fmamk_f32 v3, v93, 0x3f6eb680, v169
	v_mul_f32_e32 v173, 0xbf4c4adb, v52
	v_mul_f32_e32 v6, 0xbf06c442, v21
	v_add_f32_e32 v1, v2, v1
	v_fma_f32 v2, 0x3f6eb680, v38, -v172
	v_add_f32_e32 v0, v3, v0
	v_fmamk_f32 v3, v94, 0xbf1a4643, v173
	v_fmamk_f32 v7, v96, 0xbf59a7d5, v6
	v_mul_f32_e32 v8, 0x3f65296c, v18
	v_mul_f32_e32 v9, 0xbf06c442, v85
	v_add_f32_e32 v2, v2, v1
	v_add_f32_e32 v1, v3, v0
	;; [unrolled: 1-line block ×3, first 2 shown]
	v_fmamk_f32 v3, v97, 0x3ee437d1, v8
	v_mul_f32_e32 v7, 0xbf7ee86f, v20
	v_fma_f32 v122, 0xbf59a7d5, v16, -v9
	v_mul_f32_e32 v142, 0x3f65296c, v86
	v_mul_f32_e32 v147, 0x3f4c4adb, v34
	v_add_f32_e32 v0, v3, v0
	v_fmamk_f32 v3, v98, 0x3dbcf732, v7
	v_add_f32_e32 v122, v4, v122
	v_fma_f32 v123, 0x3ee437d1, v17, -v142
	v_mul_f32_e32 v148, 0xbf7ee86f, v87
	v_mul_f32_e32 v149, 0xbeb8f4ab, v36
	v_add_f32_e32 v0, v3, v0
	v_fmamk_f32 v3, v100, 0xbf1a4643, v147
	v_add_f32_e32 v122, v123, v122
	v_fma_f32 v123, 0x3dbcf732, v19, -v148
	v_mul_f32_e32 v150, 0x3f4c4adb, v88
	v_mul_f32_e32 v151, 0xbe3c28d5, v37
	v_add_f32_e32 v0, v3, v0
	v_fmamk_f32 v3, v99, 0x3f6eb680, v149
	v_add_f32_e32 v122, v123, v122
	v_fma_f32 v123, 0xbf1a4643, v22, -v150
	v_mul_f32_e32 v152, 0xbeb8f4ab, v89
	v_mul_f32_e32 v177, 0xbf4c4adb, v92
	v_add_f32_e32 v0, v3, v0
	v_fmamk_f32 v3, v95, 0xbf7ba420, v151
	v_mul_f32_e32 v153, 0x3f2c7751, v39
	v_add_f32_e32 v122, v123, v122
	v_fma_f32 v123, 0x3f6eb680, v23, -v152
	v_mul_f32_e32 v154, 0xbe3c28d5, v90
	v_fma_f32 v126, 0xbf1a4643, v51, -v177
	v_add_f32_e32 v3, v3, v0
	v_fmamk_f32 v127, v93, 0x3f3d2fb0, v153
	v_add_f32_e32 v122, v123, v122
	v_fma_f32 v123, 0xbf7ba420, v35, -v154
	v_mul_f32_e32 v157, 0x3f2c7751, v91
	v_mul_f32_e32 v125, 0xbf7ba420, v96
	v_add_f32_e32 v0, v126, v2
	v_add_f32_e32 v2, v127, v3
	;; [unrolled: 1-line block ×3, first 2 shown]
	v_fma_f32 v123, 0x3f3d2fb0, v38, -v157
	v_fmamk_f32 v126, v21, 0x3e3c28d5, v125
	v_mul_f32_e32 v122, 0x3f6eb680, v97
	v_mul_f32_e32 v158, 0xbf763a35, v52
	;; [unrolled: 1-line block ×3, first 2 shown]
	v_add_f32_e32 v133, v123, v3
	v_add_f32_e32 v3, v5, v126
	v_fmamk_f32 v126, v18, 0xbeb8f4ab, v122
	v_mul_f32_e32 v123, 0xbf59a7d5, v98
	v_fmamk_f32 v127, v94, 0xbe8c1d8e, v158
	v_mul_f32_e32 v129, 0x3f3d2fb0, v100
	v_mul_f32_e32 v135, 0x3eb8f4ab, v86
	v_add_f32_e32 v126, v126, v3
	v_fmamk_f32 v131, v20, 0x3f06c442, v123
	v_add_f32_e32 v3, v127, v2
	v_fmamk_f32 v2, v16, 0xbf7ba420, v134
	v_fmamk_f32 v127, v34, 0xbf2c7751, v129
	v_fmamk_f32 v138, v17, 0x3f6eb680, v135
	v_add_f32_e32 v126, v131, v126
	v_mul_f32_e32 v131, 0xbf1a4643, v99
	v_add_f32_e32 v2, v4, v2
	v_mul_f32_e32 v136, 0xbf06c442, v87
	v_mul_f32_e32 v159, 0xbf763a35, v92
	v_add_f32_e32 v127, v127, v126
	v_fmamk_f32 v139, v36, 0x3f4c4adb, v131
	v_mul_f32_e32 v126, 0x3ee437d1, v95
	v_add_f32_e32 v2, v138, v2
	v_fmamk_f32 v146, v19, 0xbf59a7d5, v136
	v_mul_f32_e32 v138, 0x3f2c7751, v88
	v_fma_f32 v144, 0xbe8c1d8e, v51, -v159
	v_add_f32_e32 v155, v139, v127
	v_fmamk_f32 v156, v37, 0xbf65296c, v126
	v_mul_f32_e32 v127, 0xbe8c1d8e, v93
	v_add_f32_e32 v146, v146, v2
	v_fmamk_f32 v160, v22, 0x3f3d2fb0, v138
	v_mul_f32_e32 v139, 0xbf4c4adb, v89
	v_fma_f32 v6, 0xbf59a7d5, v96, -v6
	v_fmac_f32_e32 v9, 0xbf59a7d5, v16
	v_add_f32_e32 v2, v144, v133
	v_add_f32_e32 v144, v156, v155
	v_fmamk_f32 v155, v39, 0x3f763a35, v127
	v_add_f32_e32 v146, v160, v146
	v_fmamk_f32 v156, v23, 0xbf1a4643, v139
	v_mul_f32_e32 v133, 0x3f65296c, v90
	v_add_f32_e32 v6, v5, v6
	v_fma_f32 v8, 0x3ee437d1, v97, -v8
	v_add_f32_e32 v9, v4, v9
	v_fmac_f32_e32 v142, 0x3ee437d1, v17
	v_add_f32_e32 v155, v155, v144
	v_add_f32_e32 v144, v156, v146
	v_fmamk_f32 v146, v35, 0x3ee437d1, v133
	v_add_f32_e32 v6, v8, v6
	v_fma_f32 v7, 0x3dbcf732, v98, -v7
	v_add_f32_e32 v8, v142, v9
	v_fmac_f32_e32 v148, 0x3dbcf732, v19
	v_add_f32_e32 v156, v146, v144
	v_mul_f32_e32 v146, 0x3dbcf732, v94
	v_add_f32_e32 v6, v7, v6
	v_fma_f32 v7, 0xbf1a4643, v100, -v147
	v_add_f32_e32 v8, v148, v8
	v_fmac_f32_e32 v150, 0xbf1a4643, v22
	v_mul_f32_e32 v144, 0xbf763a35, v91
	v_fmamk_f32 v142, v52, 0xbf7ee86f, v146
	v_add_f32_e32 v6, v7, v6
	v_fma_f32 v147, 0x3f6eb680, v99, -v149
	v_add_f32_e32 v8, v150, v8
	v_fmac_f32_e32 v152, 0x3f6eb680, v23
	v_fmamk_f32 v9, v38, 0xbe8c1d8e, v144
	v_add_f32_e32 v7, v142, v155
	v_mul_f32_e32 v142, 0x3f7ee86f, v92
	v_add_f32_e32 v6, v147, v6
	v_fma_f32 v147, 0xbf7ba420, v95, -v151
	v_add_f32_e32 v8, v152, v8
	v_fmac_f32_e32 v154, 0xbf7ba420, v35
	v_mul_f32_e32 v155, 0xbf1a4643, v96
	v_add_f32_e32 v9, v9, v156
	v_fmamk_f32 v148, v51, 0x3dbcf732, v142
	v_add_f32_e32 v147, v147, v6
	v_fma_f32 v149, 0x3f3d2fb0, v93, -v153
	v_add_f32_e32 v8, v154, v8
	v_fmac_f32_e32 v157, 0x3f3d2fb0, v38
	v_fmamk_f32 v150, v21, 0x3f4c4adb, v155
	v_mul_f32_e32 v156, 0xbe8c1d8e, v97
	v_add_f32_e32 v6, v148, v9
	v_add_f32_e32 v9, v149, v147
	;; [unrolled: 1-line block ×4, first 2 shown]
	v_fmamk_f32 v149, v18, 0xbf763a35, v156
	v_mul_f32_e32 v147, 0x3f6eb680, v98
	v_fma_f32 v150, 0xbe8c1d8e, v94, -v158
	v_mul_f32_e32 v157, 0xbf4c4adb, v85
	v_mul_f32_e32 v158, 0x3f763a35, v86
	v_add_f32_e32 v149, v149, v148
	v_fmamk_f32 v151, v20, 0x3eb8f4ab, v147
	v_mul_f32_e32 v148, 0xbf59a7d5, v100
	v_add_f32_e32 v9, v150, v9
	v_fmamk_f32 v150, v16, 0xbf1a4643, v157
	v_fmamk_f32 v160, v17, 0xbe8c1d8e, v158
	v_add_f32_e32 v151, v151, v149
	v_fmamk_f32 v153, v34, 0x3f06c442, v148
	v_mul_f32_e32 v149, 0x3dbcf732, v99
	v_add_f32_e32 v154, v4, v150
	v_mul_f32_e32 v152, 0xbeb8f4ab, v87
	v_mul_f32_e32 v150, 0x3f3d2fb0, v95
	v_add_f32_e32 v151, v153, v151
	v_fmamk_f32 v170, v36, 0xbf7ee86f, v149
	v_add_f32_e32 v154, v160, v154
	v_fmamk_f32 v160, v19, 0x3f6eb680, v152
	v_mul_f32_e32 v153, 0xbf06c442, v88
	v_fma_f32 v10, 0xbe8c1d8e, v96, -v10
	v_fmac_f32_e32 v159, 0xbe8c1d8e, v51
	v_add_f32_e32 v170, v170, v151
	v_fmamk_f32 v171, v37, 0x3f2c7751, v150
	v_mul_f32_e32 v151, 0xbf7ba420, v93
	v_add_f32_e32 v160, v160, v154
	v_fmamk_f32 v174, v22, 0xbf59a7d5, v153
	v_mul_f32_e32 v154, 0x3f7ee86f, v89
	v_fmac_f32_e32 v13, 0xbe8c1d8e, v16
	v_add_f32_e32 v10, v5, v10
	v_fma_f32 v11, 0xbf59a7d5, v97, -v11
	v_add_f32_e32 v170, v171, v170
	v_fmamk_f32 v171, v39, 0x3e3c28d5, v151
	v_add_f32_e32 v8, v159, v8
	v_add_f32_e32 v160, v174, v160
	v_fmamk_f32 v174, v23, 0x3dbcf732, v154
	v_mul_f32_e32 v159, 0xbf2c7751, v90
	v_add_f32_e32 v13, v4, v13
	v_fmac_f32_e32 v162, 0xbf59a7d5, v17
	v_add_f32_e32 v10, v11, v10
	v_fma_f32 v11, 0x3f3d2fb0, v98, -v12
	v_add_f32_e32 v170, v171, v170
	v_add_f32_e32 v171, v174, v160
	v_fmamk_f32 v174, v35, 0x3f3d2fb0, v159
	v_mul_f32_e32 v160, 0xbe3c28d5, v91
	v_add_f32_e32 v13, v162, v13
	v_add_f32_e32 v10, v11, v10
	v_fma_f32 v11, 0x3ee437d1, v100, -v161
	v_mul_f32_e32 v162, 0x3ee437d1, v94
	v_add_f32_e32 v12, v174, v171
	v_fmac_f32_e32 v164, 0x3f3d2fb0, v19
	v_fmamk_f32 v171, v38, 0xbf7ba420, v160
	v_add_f32_e32 v10, v11, v10
	v_fma_f32 v11, 0xbf7ba420, v99, -v163
	v_fmamk_f32 v163, v52, 0xbf65296c, v162
	v_mul_f32_e32 v161, 0x3f65296c, v92
	v_add_f32_e32 v13, v164, v13
	v_fmac_f32_e32 v165, 0x3ee437d1, v22
	v_add_f32_e32 v12, v171, v12
	v_add_f32_e32 v10, v11, v10
	v_fma_f32 v164, 0x3dbcf732, v95, -v166
	v_add_f32_e32 v11, v163, v170
	v_fmamk_f32 v163, v51, 0x3ee437d1, v161
	v_mul_f32_e32 v170, 0x3dbcf732, v96
	v_add_f32_e32 v13, v165, v13
	v_fmac_f32_e32 v167, 0xbf7ba420, v23
	v_add_f32_e32 v164, v164, v10
	v_fma_f32 v165, 0x3f6eb680, v93, -v169
	v_add_f32_e32 v10, v163, v12
	v_fmamk_f32 v163, v21, 0x3f7ee86f, v170
	v_mul_f32_e32 v171, 0xbf7ba420, v97
	v_add_f32_e32 v13, v167, v13
	v_fmac_f32_e32 v168, 0x3dbcf732, v35
	v_add_f32_e32 v12, v165, v164
	v_mul_f32_e32 v167, 0xbf7ee86f, v85
	v_add_f32_e32 v163, v5, v163
	v_fmamk_f32 v165, v18, 0x3e3c28d5, v171
	v_mul_f32_e32 v175, 0xbe8c1d8e, v98
	v_add_f32_e32 v13, v168, v13
	v_fmac_f32_e32 v172, 0x3f6eb680, v38
	v_fmamk_f32 v166, v16, 0x3dbcf732, v167
	v_mul_f32_e32 v168, 0xbe3c28d5, v86
	v_add_f32_e32 v163, v165, v163
	v_fmamk_f32 v165, v20, 0xbf763a35, v175
	v_mul_f32_e32 v176, 0x3f6eb680, v100
	v_add_f32_e32 v164, v172, v13
	v_fma_f32 v13, 0xbf1a4643, v94, -v173
	v_add_f32_e32 v166, v4, v166
	v_fmamk_f32 v172, v17, 0xbf7ba420, v168
	v_mul_f32_e32 v169, 0x3f763a35, v87
	v_add_f32_e32 v165, v165, v163
	v_fmamk_f32 v174, v34, 0xbeb8f4ab, v176
	v_mul_f32_e32 v173, 0x3ee437d1, v99
	;; [unrolled: 3-line block ×4, first 2 shown]
	v_fmac_f32_e32 v177, 0xbf1a4643, v51
	v_add_f32_e32 v166, v172, v166
	v_fmamk_f32 v172, v22, 0x3f6eb680, v163
	v_mul_f32_e32 v165, 0xbf65296c, v89
	v_add_f32_e32 v178, v179, v178
	v_fmamk_f32 v179, v37, 0x3f06c442, v174
	v_add_f32_e32 v13, v13, v12
	v_add_f32_e32 v180, v172, v166
	v_fmamk_f32 v181, v23, 0x3ee437d1, v165
	v_add_f32_e32 v12, v177, v164
	v_mul_f32_e32 v166, 0xbf06c442, v90
	v_add_f32_e32 v177, v179, v178
	v_mul_f32_e32 v179, 0xbf65296c, v21
	v_mul_f32_e32 v172, 0xbf1a4643, v93
	v_add_f32_e32 v178, v181, v180
	v_fmamk_f32 v180, v35, 0xbf59a7d5, v166
	v_mul_f32_e32 v164, 0x3f4c4adb, v91
	v_mul_f32_e32 v182, 0xbf4c4adb, v18
	v_sub_f32_e32 v179, v145, v179
	v_fmamk_f32 v181, v39, 0xbf4c4adb, v172
	v_add_f32_e32 v178, v180, v178
	v_fmamk_f32 v180, v38, 0xbf1a4643, v164
	v_mul_f32_e32 v145, 0x3f3d2fb0, v94
	v_sub_f32_e32 v143, v143, v182
	v_add_f32_e32 v179, v5, v179
	v_add_f32_e32 v177, v181, v177
	v_mul_f32_e32 v181, 0x3e3c28d5, v20
	v_add_f32_e32 v178, v180, v178
	v_fmamk_f32 v180, v52, 0xbf2c7751, v145
	v_add_f32_e32 v143, v143, v179
	v_mul_f32_e32 v179, 0x3ee437d1, v16
	v_sub_f32_e32 v181, v15, v181
	v_mul_f32_e32 v182, 0x3f763a35, v34
	v_add_f32_e32 v15, v180, v177
	v_mul_f32_e32 v177, 0xbf1a4643, v17
	v_add_f32_e32 v132, v179, v132
	v_add_f32_e32 v143, v181, v143
	v_sub_f32_e32 v141, v141, v182
	v_mul_f32_e32 v179, 0x3f2c7751, v36
	v_add_f32_e32 v177, v177, v130
	v_add_f32_e32 v132, v4, v132
	v_mul_f32_e32 v180, 0xbf7ba420, v19
	v_add_f32_e32 v141, v141, v143
	v_sub_f32_e32 v140, v140, v179
	v_mul_f32_e32 v143, 0xbeb8f4ab, v37
	v_add_f32_e32 v132, v177, v132
	v_add_f32_e32 v128, v180, v128
	v_mul_f32_e32 v177, 0xbe8c1d8e, v22
	v_add_f32_e32 v140, v140, v141
	v_mul_f32_e32 v141, 0xbf2c7751, v21
	v_sub_f32_e32 v137, v137, v143
	v_add_f32_e32 v128, v128, v132
	v_add_f32_e32 v132, v177, v14
	v_mul_f32_e32 v143, 0x3f3d2fb0, v23
	v_sub_f32_e32 v117, v117, v141
	v_add_f32_e32 v137, v137, v140
	v_mul_f32_e32 v140, 0xbf7ee86f, v39
	v_add_f32_e32 v128, v132, v128
	v_mul_f32_e32 v132, 0xbf7ee86f, v18
	v_add_f32_e32 v117, v5, v117
	v_add_f32_e32 v121, v143, v121
	v_sub_f32_e32 v124, v124, v140
	v_mul_f32_e32 v141, 0x3f6eb680, v35
	v_sub_f32_e32 v116, v116, v132
	v_mul_f32_e32 v132, 0xbf4c4adb, v20
	v_add_f32_e32 v121, v121, v128
	v_mul_f32_e32 v128, 0x3dbcf732, v38
	v_add_f32_e32 v120, v141, v120
	v_add_f32_e32 v116, v116, v117
	v_sub_f32_e32 v115, v115, v132
	v_add_f32_e32 v117, v124, v137
	v_mul_f32_e32 v124, 0xbe3c28d5, v34
	v_add_f32_e32 v120, v120, v121
	v_add_f32_e32 v119, v128, v119
	;; [unrolled: 1-line block ×3, first 2 shown]
	v_mul_f32_e32 v116, 0x3f3d2fb0, v16
	v_sub_f32_e32 v113, v113, v124
	v_mul_f32_e32 v124, 0x3dbcf732, v17
	v_mul_f32_e32 v121, 0x3f06c442, v36
	;; [unrolled: 1-line block ×3, first 2 shown]
	v_add_f32_e32 v111, v116, v111
	v_mul_f32_e32 v116, 0xbf1a4643, v19
	v_add_f32_e32 v110, v124, v110
	v_add_f32_e32 v113, v113, v115
	v_mul_f32_e32 v115, 0xbf06c442, v52
	v_add_f32_e32 v111, v4, v111
	v_add_f32_e32 v108, v116, v108
	v_sub_f32_e32 v112, v112, v121
	v_add_f32_e32 v72, v4, v72
	v_sub_f32_e32 v115, v118, v115
	v_add_f32_e32 v110, v110, v111
	v_mul_f32_e32 v111, 0xbf7ba420, v22
	v_add_f32_e32 v118, v119, v120
	v_mul_f32_e32 v119, 0x3f763a35, v37
	v_add_f32_e32 v112, v112, v113
	v_add_f32_e32 v108, v108, v110
	;; [unrolled: 1-line block ×3, first 2 shown]
	v_mul_f32_e32 v110, 0xbf59a7d5, v23
	v_mul_f32_e32 v111, 0x3f65296c, v39
	v_sub_f32_e32 v109, v109, v119
	v_mul_f32_e32 v96, 0x3f6eb680, v96
	v_add_f32_e32 v107, v107, v108
	v_add_f32_e32 v108, v110, v105
	v_sub_f32_e32 v110, v106, v111
	v_mul_f32_e32 v111, 0xbe8c1d8e, v35
	v_add_f32_e32 v109, v109, v112
	v_mul_f32_e32 v86, 0xbf2c7751, v86
	v_add_f32_e32 v107, v108, v107
	v_add_f32_e32 v71, v72, v71
	;; [unrolled: 1-line block ×4, first 2 shown]
	v_mul_f32_e32 v109, 0x3ee437d1, v38
	v_fmamk_f32 v110, v21, 0x3eb8f4ab, v96
	v_mul_f32_e32 v97, 0x3f3d2fb0, v97
	v_add_f32_e32 v104, v104, v107
	v_mul_f32_e32 v107, 0x3eb8f4ab, v52
	v_add_f32_e32 v103, v109, v103
	v_mul_f32_e32 v87, 0xbf65296c, v87
	v_add_f32_e32 v70, v71, v70
	v_add_f32_e32 v109, v5, v110
	v_sub_f32_e32 v102, v102, v107
	v_mul_f32_e32 v107, 0x3f6eb680, v51
	v_add_f32_e32 v103, v103, v104
	v_fmamk_f32 v110, v18, 0x3f2c7751, v97
	v_mul_f32_e32 v98, 0x3ee437d1, v98
	v_add_f32_e32 v67, v70, v67
	v_add_f32_e32 v101, v107, v101
	;; [unrolled: 1-line block ×4, first 2 shown]
	v_fmamk_f32 v109, v20, 0x3f65296c, v98
	v_mul_f32_e32 v100, 0x3dbcf732, v100
	v_add_f32_e32 v65, v67, v65
	v_add_f32_e32 v107, v107, v83
	;; [unrolled: 1-line block ×3, first 2 shown]
	v_fmamk_f32 v103, v16, 0x3f6eb680, v85
	v_add_f32_e32 v84, v102, v108
	v_add_f32_e32 v102, v109, v104
	;; [unrolled: 1-line block ×3, first 2 shown]
	v_fmamk_f32 v104, v34, 0x3f7ee86f, v100
	v_add_f32_e32 v72, v4, v103
	v_mul_f32_e32 v99, 0xbe8c1d8e, v99
	v_add_f32_e32 v64, v65, v64
	v_add_f32_e32 v81, v82, v81
	v_fmamk_f32 v82, v17, 0x3f3d2fb0, v86
	v_add_f32_e32 v101, v104, v102
	v_fmamk_f32 v102, v36, 0x3f763a35, v99
	v_mul_f32_e32 v95, 0xbf1a4643, v95
	v_add_f32_e32 v80, v81, v80
	v_add_f32_e32 v71, v82, v72
	v_fmamk_f32 v72, v19, 0x3ee437d1, v87
	v_mul_f32_e32 v81, 0xbf7ee86f, v88
	v_add_f32_e32 v62, v64, v62
	v_add_f32_e32 v79, v80, v79
	v_mul_f32_e32 v64, 0xbf06c442, v91
	v_add_f32_e32 v70, v72, v71
	v_fmamk_f32 v71, v22, 0x3dbcf732, v81
	v_mul_f32_e32 v72, 0xbf763a35, v89
	v_add_f32_e32 v67, v79, v78
	v_mul_f32_e32 v78, 0xbf4c4adb, v90
	v_add_f32_e32 v101, v102, v101
	v_add_f32_e32 v70, v71, v70
	v_fmamk_f32 v71, v23, 0xbe8c1d8e, v72
	v_add_f32_e32 v67, v67, v77
	v_fmamk_f32 v82, v37, 0x3f4c4adb, v95
	v_mul_f32_e32 v65, 0xbf59a7d5, v93
	v_add_f32_e32 v61, v62, v61
	v_add_f32_e32 v70, v71, v70
	v_fmamk_f32 v71, v35, 0xbf1a4643, v78
	v_add_f32_e32 v67, v67, v76
	v_fmamk_f32 v62, v38, 0xbf59a7d5, v64
	;; [unrolled: 2-line block ×3, first 2 shown]
	v_add_f32_e32 v70, v71, v70
	v_add_f32_e32 v67, v67, v75
	v_mul_f32_e32 v75, 0xbf7ba420, v94
	v_add_f32_e32 v60, v61, v60
	v_add_f32_e32 v71, v76, v80
	;; [unrolled: 1-line block ×4, first 2 shown]
	v_mul_f32_e32 v67, 0xbe3c28d5, v92
	v_fmamk_f32 v70, v52, 0x3e3c28d5, v75
	v_add_f32_e32 v60, v60, v59
	v_fmac_f32_e32 v125, 0xbe3c28d5, v21
	v_add_f32_e32 v62, v62, v73
	v_fmamk_f32 v73, v51, 0xbf7ba420, v67
	v_add_f32_e32 v59, v70, v71
	v_add_f32_e32 v60, v60, v58
	;; [unrolled: 1-line block ×3, first 2 shown]
	v_fmac_f32_e32 v122, 0x3eb8f4ab, v18
	v_add_f32_e32 v58, v73, v61
	v_fma_f32 v61, 0xbf7ba420, v16, -v134
	v_add_f32_e32 v62, v62, v69
	v_add_f32_e32 v54, v60, v54
	;; [unrolled: 1-line block ×3, first 2 shown]
	v_fmac_f32_e32 v123, 0xbf06c442, v20
	v_add_f32_e32 v61, v4, v61
	v_fma_f32 v69, 0x3f6eb680, v17, -v135
	v_add_f32_e32 v54, v54, v56
	v_fmac_f32_e32 v129, 0x3f2c7751, v34
	v_add_f32_e32 v56, v123, v60
	v_fmac_f32_e32 v131, 0xbf4c4adb, v36
	v_add_f32_e32 v60, v69, v61
	v_fma_f32 v61, 0xbf59a7d5, v19, -v136
	v_add_f32_e32 v55, v54, v55
	v_add_f32_e32 v56, v129, v56
	v_fmac_f32_e32 v126, 0x3f65296c, v37
	v_fmac_f32_e32 v155, 0xbf4c4adb, v21
	v_add_f32_e32 v60, v61, v60
	v_fma_f32 v61, 0x3f3d2fb0, v22, -v138
	v_add_f32_e32 v53, v55, v53
	v_add_f32_e32 v55, v131, v56
	v_fmac_f32_e32 v127, 0xbf763a35, v39
	v_fmac_f32_e32 v156, 0x3f763a35, v18
	v_add_f32_e32 v56, v61, v60
	v_fma_f32 v60, 0xbf1a4643, v23, -v139
	v_add_f32_e32 v53, v53, v57
	v_add_f32_e32 v55, v126, v55
	v_fma_f32 v57, 0x3ee437d1, v35, -v133
	v_add_f32_e32 v62, v62, v68
	v_add_f32_e32 v56, v60, v56
	;; [unrolled: 1-line block ×4, first 2 shown]
	v_fmac_f32_e32 v146, 0x3f7ee86f, v52
	v_fma_f32 v61, 0xbe8c1d8e, v38, -v144
	v_add_f32_e32 v57, v57, v56
	v_add_f32_e32 v60, v156, v60
	v_fmac_f32_e32 v147, 0xbeb8f4ab, v20
	v_add_f32_e32 v62, v62, v66
	v_add_f32_e32 v56, v146, v55
	v_fma_f32 v55, 0xbf1a4643, v16, -v157
	v_add_f32_e32 v57, v61, v57
	v_fma_f32 v61, 0x3dbcf732, v51, -v142
	v_add_f32_e32 v60, v147, v60
	v_fmac_f32_e32 v148, 0xbf06c442, v34
	v_add_f32_e32 v54, v62, v63
	v_add_f32_e32 v62, v4, v55
	v_fma_f32 v63, 0xbe8c1d8e, v17, -v158
	v_add_f32_e32 v55, v61, v57
	v_fmac_f32_e32 v170, 0xbf7ee86f, v21
	v_add_f32_e32 v57, v148, v60
	v_fmac_f32_e32 v149, 0x3f7ee86f, v36
	v_add_f32_e32 v60, v63, v62
	v_fma_f32 v61, 0x3f6eb680, v19, -v152
	v_add_f32_e32 v62, v5, v170
	v_fmac_f32_e32 v171, 0xbe3c28d5, v18
	v_add_f32_e32 v57, v149, v57
	v_fmac_f32_e32 v150, 0xbf2c7751, v37
	;; [unrolled: 6-line block ×4, first 2 shown]
	v_add_f32_e32 v60, v61, v60
	v_fmac_f32_e32 v173, 0xbf65296c, v36
	v_add_f32_e32 v62, v176, v62
	v_fmac_f32_e32 v174, 0xbf06c442, v37
	v_add_f32_e32 v61, v162, v57
	v_fma_f32 v57, 0x3dbcf732, v16, -v167
	v_fma_f32 v66, 0xbf7ba420, v17, -v168
	v_add_f32_e32 v62, v173, v62
	v_fma_f32 v16, 0x3f6eb680, v16, -v85
	v_fmac_f32_e32 v172, 0x3f4c4adb, v39
	v_add_f32_e32 v57, v4, v57
	v_fmac_f32_e32 v96, 0xbeb8f4ab, v21
	v_add_f32_e32 v62, v174, v62
	v_add_f32_e32 v4, v4, v16
	v_fma_f32 v16, 0x3f3d2fb0, v17, -v86
	v_add_f32_e32 v57, v66, v57
	v_fma_f32 v66, 0xbe8c1d8e, v19, -v169
	v_add_f32_e32 v21, v172, v62
	v_fma_f32 v62, 0x3f6eb680, v22, -v163
	v_add_f32_e32 v5, v5, v96
	v_fmac_f32_e32 v97, 0xbf2c7751, v18
	v_add_f32_e32 v57, v66, v57
	v_add_f32_e32 v4, v16, v4
	v_fma_f32 v16, 0x3ee437d1, v19, -v87
	v_fma_f32 v18, 0x3ee437d1, v23, -v165
	v_add_f32_e32 v5, v97, v5
	v_add_f32_e32 v17, v62, v57
	v_fmac_f32_e32 v98, 0xbf65296c, v20
	v_add_f32_e32 v4, v16, v4
	v_fma_f32 v16, 0x3dbcf732, v22, -v81
	v_fmac_f32_e32 v100, 0xbf7ee86f, v34
	v_add_f32_e32 v17, v18, v17
	v_fma_f32 v18, 0xbf59a7d5, v35, -v166
	v_add_f32_e32 v5, v98, v5
	v_add_f32_e32 v4, v16, v4
	v_lshrrev_b32_e32 v16, 1, v26
	v_fmac_f32_e32 v99, 0xbf763a35, v36
	v_add_f32_e32 v17, v18, v17
	v_add_f32_e32 v5, v100, v5
	v_fma_f32 v18, 0xbe8c1d8e, v23, -v72
	v_mul_u32_u24_e32 v16, 34, v16
	v_fma_f32 v63, 0x3f3d2fb0, v35, -v159
	v_fmac_f32_e32 v95, 0xbf4c4adb, v37
	v_add_f32_e32 v5, v99, v5
	v_add_f32_e32 v4, v18, v4
	v_fma_f32 v18, 0xbf1a4643, v35, -v78
	v_or_b32_e32 v16, v16, v50
	v_mul_f32_e32 v113, 0xbf59a7d5, v51
	v_mul_f32_e32 v130, 0x3f2c7751, v92
	v_add_f32_e32 v60, v63, v60
	v_fma_f32 v63, 0xbf7ba420, v38, -v160
	v_fma_f32 v19, 0xbf1a4643, v38, -v164
	v_add_f32_e32 v5, v95, v5
	v_fmac_f32_e32 v65, 0xbf06c442, v39
	v_add_f32_e32 v4, v18, v4
	v_fma_f32 v18, 0xbf59a7d5, v38, -v64
	v_lshlrev_b32_e32 v16, 3, v16
	v_add_f32_e32 v113, v113, v114
	v_fmamk_f32 v179, v51, 0x3f3d2fb0, v130
	v_add_f32_e32 v60, v63, v60
	v_fma_f32 v63, 0x3ee437d1, v51, -v161
	v_fmac_f32_e32 v145, 0x3f2c7751, v52
	v_add_f32_e32 v17, v19, v17
	v_fma_f32 v19, 0x3f3d2fb0, v51, -v130
	v_add_f32_e32 v20, v65, v5
	v_fmac_f32_e32 v75, 0xbe3c28d5, v52
	v_add_f32_e32 v18, v18, v4
	v_fma_f32 v22, 0xbf7ba420, v51, -v67
	v_add3_u32 v23, 0, v16, v44
	v_add_f32_e32 v106, v115, v117
	v_add_f32_e32 v105, v113, v118
	;; [unrolled: 1-line block ×8, first 2 shown]
	ds_write2_b64 v23, v[53:54], v[58:59] offset1:2
	ds_write2_b64 v23, v[83:84], v[105:106] offset0:4 offset1:6
	ds_write2_b64 v23, v[14:15], v[12:13] offset0:8 offset1:10
	;; [unrolled: 1-line block ×7, first 2 shown]
	ds_write_b64 v23, v[16:17] offset:256
.LBB0_26:
	s_or_b32 exec_lo, exec_lo, s4
	v_add_nc_u32_e32 v0, 0xc00, v27
	v_add_nc_u32_e32 v1, 0x1000, v27
	s_waitcnt lgkmcnt(0)
	s_barrier
	buffer_gl0_inv
	ds_read2_b64 v[12:15], v0 offset0:126 offset1:194
	v_add_nc_u32_e32 v0, 0x400, v27
	v_add_nc_u32_e32 v2, 0x1800, v27
	;; [unrolled: 1-line block ×3, first 2 shown]
	ds_read2_b64 v[8:11], v27 offset0:68 offset1:136
	ds_read2_b64 v[20:23], v1 offset0:134 offset1:202
	;; [unrolled: 1-line block ×5, first 2 shown]
	ds_read_b64 v[36:37], v43
	ds_read_b64 v[38:39], v27 offset:7344
	s_and_saveexec_b32 s1, s0
	s_cbranch_execz .LBB0_28
; %bb.27:
	ds_read_b64 v[30:31], v27 offset:3808
	ds_read_b64 v[32:33], v27 offset:7888
.LBB0_28:
	s_or_b32 exec_lo, exec_lo, s1
	v_and_b32_e32 v34, 0xff, v46
	v_and_b32_e32 v51, 0xff, v45
	v_subrev_nc_u32_e32 v52, 34, v26
	v_mov_b32_e32 v54, 0xf0f1
	v_mov_b32_e32 v35, 0
	v_mul_lo_u16 v55, 0xf1, v34
	v_mul_lo_u16 v56, 0xf1, v51
	v_cndmask_b32_e64 v34, v52, v26, s0
	v_mul_u32_u24_sdwa v53, v48, v54 dst_sel:DWORD dst_unused:UNUSED_PAD src0_sel:WORD_0 src1_sel:DWORD
	v_mul_u32_u24_sdwa v52, v47, v54 dst_sel:DWORD dst_unused:UNUSED_PAD src0_sel:WORD_0 src1_sel:DWORD
	v_lshrrev_b16 v69, 13, v55
	v_mul_u32_u24_sdwa v57, v40, v54 dst_sel:DWORD dst_unused:UNUSED_PAD src0_sel:WORD_0 src1_sel:DWORD
	v_lshrrev_b16 v70, 13, v56
	v_lshrrev_b32_e32 v71, 21, v53
	v_lshlrev_b64 v[55:56], 3, v[34:35]
	v_mul_lo_u16 v58, v69, 34
	v_mul_u32_u24_sdwa v59, v49, v54 dst_sel:DWORD dst_unused:UNUSED_PAD src0_sel:WORD_0 src1_sel:DWORD
	v_lshrrev_b32_e32 v73, 21, v52
	v_mul_lo_u16 v60, v70, 34
	v_lshrrev_b32_e32 v74, 21, v57
	v_mov_b32_e32 v50, 3
	v_mul_lo_u16 v61, v71, 34
	v_sub_nc_u16 v58, v46, v58
	v_lshrrev_b32_e32 v75, 21, v59
	v_add_co_u32 v55, s1, s12, v55
	v_add_co_ci_u32_e64 v56, s1, s13, v56, s1
	v_mul_lo_u16 v59, v73, 34
	v_sub_nc_u16 v57, v45, v60
	v_mul_lo_u16 v60, v74, 34
	v_lshlrev_b32_sdwa v72, v50, v58 dst_sel:DWORD dst_unused:UNUSED_PAD src0_sel:DWORD src1_sel:BYTE_0
	v_sub_nc_u16 v58, v48, v61
	v_mul_lo_u16 v61, v75, 34
	global_load_dwordx2 v[55:56], v[55:56], off offset:256
	v_sub_nc_u16 v59, v47, v59
	v_lshlrev_b32_sdwa v76, v50, v57 dst_sel:DWORD dst_unused:UNUSED_PAD src0_sel:DWORD src1_sel:BYTE_0
	v_sub_nc_u16 v40, v40, v60
	v_lshlrev_b32_sdwa v77, v50, v58 dst_sel:DWORD dst_unused:UNUSED_PAD src0_sel:DWORD src1_sel:WORD_0
	v_sub_nc_u16 v49, v49, v61
	global_load_dwordx2 v[57:58], v72, s[12:13] offset:256
	v_lshlrev_b32_sdwa v78, v50, v59 dst_sel:DWORD dst_unused:UNUSED_PAD src0_sel:DWORD src1_sel:WORD_0
	s_clause 0x1
	global_load_dwordx2 v[59:60], v76, s[12:13] offset:256
	global_load_dwordx2 v[61:62], v77, s[12:13] offset:256
	v_lshlrev_b32_sdwa v79, v50, v40 dst_sel:DWORD dst_unused:UNUSED_PAD src0_sel:DWORD src1_sel:WORD_0
	v_lshlrev_b32_sdwa v49, v50, v49 dst_sel:DWORD dst_unused:UNUSED_PAD src0_sel:DWORD src1_sel:WORD_0
	s_clause 0x2
	global_load_dwordx2 v[63:64], v78, s[12:13] offset:256
	global_load_dwordx2 v[65:66], v79, s[12:13] offset:256
	;; [unrolled: 1-line block ×3, first 2 shown]
	v_and_b32_e32 v69, 0xffff, v69
	v_and_b32_e32 v70, 0xffff, v70
	v_mad_u32_u24 v75, 0x220, v75, 0
	v_mad_u32_u24 v71, 0x220, v71, 0
	v_cmp_lt_u32_e64 s1, 33, v26
	v_mad_u32_u24 v69, 0x220, v69, 0
	v_mad_u32_u24 v70, 0x220, v70, 0
	v_mad_u32_u24 v73, 0x220, v73, 0
	v_add3_u32 v49, v75, v49, v44
	v_add3_u32 v71, v71, v77, v44
	;; [unrolled: 1-line block ×4, first 2 shown]
	v_cndmask_b32_e64 v40, 0, 0x220, s1
	v_add3_u32 v73, v73, v78, v44
	v_lshlrev_b32_e32 v34, 3, v34
	v_mad_u32_u24 v74, 0x220, v74, 0
	s_waitcnt vmcnt(0) lgkmcnt(0)
	v_add_nc_u32_e32 v80, 0, v40
	v_lshlrev_b32_e32 v40, 1, v26
	s_barrier
	v_add3_u32 v74, v74, v79, v44
	buffer_gl0_inv
	v_add3_u32 v34, v80, v34, v44
	v_mul_f32_e32 v72, v56, v13
	v_mul_f32_e32 v56, v56, v12
	v_fmac_f32_e32 v72, v55, v12
	v_fma_f32 v13, v55, v13, -v56
	v_mul_f32_e32 v55, v58, v15
	v_mul_f32_e32 v56, v58, v14
	;; [unrolled: 1-line block ×12, first 2 shown]
	v_fmac_f32_e32 v55, v57, v14
	v_fma_f32 v56, v57, v15, -v56
	v_fmac_f32_e32 v58, v59, v20
	v_fma_f32 v20, v59, v21, -v60
	;; [unrolled: 2-line block ×4, first 2 shown]
	v_sub_f32_e32 v12, v36, v72
	v_sub_f32_e32 v13, v37, v13
	v_fmac_f32_e32 v77, v65, v18
	v_fma_f32 v57, v65, v19, -v66
	v_fmac_f32_e32 v78, v67, v38
	v_fma_f32 v39, v67, v39, -v68
	v_sub_f32_e32 v16, v8, v55
	v_sub_f32_e32 v17, v9, v56
	;; [unrolled: 1-line block ×8, first 2 shown]
	v_fma_f32 v14, v36, 2.0, -v12
	v_fma_f32 v15, v37, 2.0, -v13
	v_sub_f32_e32 v36, v0, v77
	v_sub_f32_e32 v37, v1, v57
	;; [unrolled: 1-line block ×4, first 2 shown]
	v_fma_f32 v8, v8, 2.0, -v16
	v_fma_f32 v9, v9, 2.0, -v17
	;; [unrolled: 1-line block ×10, first 2 shown]
	ds_write2_b64 v34, v[14:15], v[12:13] offset1:34
	v_fma_f32 v2, v2, 2.0, -v38
	v_fma_f32 v3, v3, 2.0, -v39
	ds_write2_b64 v69, v[8:9], v[16:17] offset1:34
	ds_write2_b64 v70, v[10:11], v[18:19] offset1:34
	;; [unrolled: 1-line block ×6, first 2 shown]
	s_and_saveexec_b32 s1, s0
	s_cbranch_execz .LBB0_30
; %bb.29:
	v_mul_u32_u24_sdwa v0, v41, v54 dst_sel:DWORD dst_unused:UNUSED_PAD src0_sel:WORD_0 src1_sel:DWORD
	v_lshrrev_b32_e32 v0, 21, v0
	v_mul_lo_u16 v0, v0, 34
	v_sub_nc_u16 v0, v41, v0
	v_lshlrev_b32_sdwa v2, v50, v0 dst_sel:DWORD dst_unused:UNUSED_PAD src0_sel:DWORD src1_sel:WORD_0
	global_load_dwordx2 v[0:1], v2, s[12:13] offset:256
	s_waitcnt vmcnt(0)
	v_mul_f32_e32 v3, v32, v1
	v_mul_f32_e32 v4, v33, v1
	v_fma_f32 v1, v33, v0, -v3
	v_fmac_f32_e32 v4, v32, v0
	v_sub_f32_e32 v1, v31, v1
	v_sub_f32_e32 v0, v30, v4
	v_add3_u32 v4, 0, v2, v44
	v_fma_f32 v3, v31, 2.0, -v1
	v_fma_f32 v2, v30, 2.0, -v0
	v_add_nc_u32_e32 v4, 0x1800, v4
	ds_write2_b64 v4, v[2:3], v[0:1] offset0:184 offset1:218
.LBB0_30:
	s_or_b32 exec_lo, exec_lo, s1
	v_mov_b32_e32 v41, v35
	v_lshrrev_b32_e32 v2, 22, v53
	v_lshrrev_b32_e32 v3, 22, v52
	v_mov_b32_e32 v16, 4
	s_waitcnt lgkmcnt(0)
	v_lshlrev_b64 v[0:1], 3, v[40:41]
	v_mul_lo_u16 v2, 0x44, v2
	v_mul_lo_u16 v3, 0x44, v3
	s_barrier
	buffer_gl0_inv
	ds_read_b64 v[40:41], v43
	v_add_co_u32 v0, s0, s12, v0
	v_add_co_ci_u32_e64 v1, s0, s13, v1, s0
	v_sub_nc_u16 v67, v48, v2
	v_mul_lo_u16 v2, 0x79, v51
	v_sub_nc_u16 v68, v47, v3
	global_load_dwordx4 v[4:7], v[0:1], off offset:528
	ds_read2_b64 v[20:23], v27 offset0:68 offset1:136
	v_lshlrev_b32_sdwa v0, v16, v67 dst_sel:DWORD dst_unused:UNUSED_PAD src0_sel:DWORD src1_sel:WORD_0
	v_lshrrev_b16 v1, 13, v2
	v_lshlrev_b32_sdwa v2, v16, v68 dst_sel:DWORD dst_unused:UNUSED_PAD src0_sel:DWORD src1_sel:WORD_0
	v_add_nc_u32_e32 v70, 0x1400, v27
	v_lshlrev_b32_e32 v34, 2, v26
	global_load_dwordx4 v[8:11], v0, s[12:13] offset:528
	v_add_nc_u32_e32 v55, 0x400, v27
	global_load_dwordx4 v[12:15], v2, s[12:13] offset:528
	v_mul_lo_u16 v0, 0x44, v1
	v_add_nc_u32_e32 v1, 0x800, v27
	v_add_nc_u32_e32 v2, 0xc00, v27
	;; [unrolled: 1-line block ×3, first 2 shown]
	v_lshlrev_b64 v[63:64], 3, v[34:35]
	v_sub_nc_u16 v69, v45, v0
	v_lshlrev_b32_e32 v34, 2, v46
	v_lshlrev_b32_sdwa v0, v16, v69 dst_sel:DWORD dst_unused:UNUSED_PAD src0_sel:DWORD src1_sel:BYTE_0
	v_lshlrev_b64 v[65:66], 3, v[34:35]
	v_lshlrev_b32_e32 v34, 2, v45
	v_lshlrev_b32_sdwa v45, v50, v67 dst_sel:DWORD dst_unused:UNUSED_PAD src0_sel:DWORD src1_sel:WORD_0
	v_lshlrev_b32_sdwa v67, v50, v68 dst_sel:DWORD dst_unused:UNUSED_PAD src0_sel:DWORD src1_sel:WORD_0
	global_load_dwordx4 v[16:19], v0, s[12:13] offset:528
	v_add_nc_u32_e32 v0, 0x1000, v27
	ds_read2_b64 v[30:33], v1 offset0:84 offset1:152
	ds_read2_b64 v[36:39], v0 offset0:100 offset1:168
	;; [unrolled: 1-line block ×6, first 2 shown]
	v_lshlrev_b32_sdwa v50, v50, v69 dst_sel:DWORD dst_unused:UNUSED_PAD src0_sel:DWORD src1_sel:BYTE_0
	v_add3_u32 v45, 0, v45, v44
	v_add3_u32 v67, 0, v67, v44
	v_add_co_u32 v63, s0, s12, v63
	s_waitcnt vmcnt(0) lgkmcnt(0)
	v_add3_u32 v44, 0, v50, v44
	s_barrier
	buffer_gl0_inv
	v_add_nc_u32_e32 v50, 0x1000, v45
	v_add_co_ci_u32_e64 v64, s0, s13, v64, s0
	v_add_nc_u32_e32 v68, 0x1800, v67
	v_add_nc_u32_e32 v69, 0x800, v44
	v_mul_f32_e32 v71, v5, v31
	v_mul_f32_e32 v72, v5, v30
	;; [unrolled: 1-line block ×14, first 2 shown]
	v_fmac_f32_e32 v71, v4, v30
	v_fma_f32 v30, v4, v31, -v72
	v_fmac_f32_e32 v73, v6, v38
	v_fma_f32 v31, v6, v39, -v74
	v_mul_f32_e32 v78, v60, v11
	v_mul_f32_e32 v11, v59, v11
	v_fmac_f32_e32 v75, v4, v32
	v_fma_f32 v4, v4, v33, -v5
	v_fmac_f32_e32 v76, v6, v46
	v_fma_f32 v7, v6, v47, -v7
	v_fmac_f32_e32 v77, v53, v8
	v_mul_f32_e32 v32, v52, v17
	v_mul_f32_e32 v5, v51, v17
	;; [unrolled: 1-line block ×4, first 2 shown]
	v_fma_f32 v8, v54, v8, -v9
	v_fmac_f32_e32 v79, v36, v12
	v_fma_f32 v9, v37, v12, -v13
	v_fmac_f32_e32 v80, v61, v14
	v_fma_f32 v15, v62, v14, -v15
	v_add_f32_e32 v12, v71, v73
	v_add_f32_e32 v14, v30, v31
	v_fmac_f32_e32 v78, v59, v10
	v_fma_f32 v11, v60, v10, -v11
	v_add_f32_e32 v36, v75, v76
	v_add_f32_e32 v39, v4, v7
	;; [unrolled: 1-line block ×3, first 2 shown]
	v_sub_f32_e32 v17, v30, v31
	v_add_f32_e32 v13, v41, v30
	v_sub_f32_e32 v19, v71, v73
	v_add_f32_e32 v30, v20, v75
	v_fmac_f32_e32 v32, v51, v16
	v_fma_f32 v16, v52, v16, -v5
	v_fmac_f32_e32 v33, v48, v18
	v_fma_f32 v47, v49, v18, -v6
	v_fma_f32 v40, -0.5, v12, v40
	v_fmac_f32_e32 v41, -0.5, v14
	v_add_f32_e32 v38, v21, v4
	v_add_f32_e32 v48, v77, v78
	;; [unrolled: 1-line block ×3, first 2 shown]
	v_sub_f32_e32 v37, v4, v7
	v_sub_f32_e32 v46, v75, v76
	v_add_f32_e32 v18, v55, v77
	v_sub_f32_e32 v49, v8, v11
	v_add_f32_e32 v51, v56, v8
	;; [unrolled: 2-line block ×3, first 2 shown]
	v_add_f32_e32 v62, v9, v15
	v_fma_f32 v8, -0.5, v36, v20
	v_fma_f32 v9, -0.5, v39, v21
	v_add_f32_e32 v59, v79, v80
	v_add_f32_e32 v4, v10, v73
	;; [unrolled: 1-line block ×5, first 2 shown]
	v_sub_f32_e32 v36, v16, v47
	v_add_f32_e32 v30, v23, v16
	v_add_f32_e32 v31, v16, v47
	v_fmamk_f32 v16, v17, 0xbf5db3d7, v40
	v_fmac_f32_e32 v40, 0x3f5db3d7, v17
	v_fmamk_f32 v17, v19, 0x3f5db3d7, v41
	v_sub_f32_e32 v53, v77, v78
	v_add_f32_e32 v7, v38, v7
	v_fma_f32 v12, -0.5, v48, v55
	v_fma_f32 v13, -0.5, v52, v56
	v_fmac_f32_e32 v41, 0xbf5db3d7, v19
	v_add_f32_e32 v10, v18, v78
	v_fmamk_f32 v18, v37, 0xbf5db3d7, v8
	v_fmac_f32_e32 v8, 0x3f5db3d7, v37
	v_fmamk_f32 v19, v46, 0x3f5db3d7, v9
	v_fmac_f32_e32 v9, 0xbf5db3d7, v46
	v_add_f32_e32 v54, v57, v79
	v_sub_f32_e32 v71, v79, v80
	v_add_f32_e32 v20, v22, v32
	v_fma_f32 v57, -0.5, v59, v57
	v_fmac_f32_e32 v58, -0.5, v62
	v_sub_f32_e32 v38, v32, v33
	v_fma_f32 v22, -0.5, v21, v22
	v_fmac_f32_e32 v23, -0.5, v31
	ds_write2_b64 v27, v[4:5], v[16:17] offset1:68
	ds_write2_b64 v27, v[40:41], v[6:7] offset0:136 offset1:204
	ds_write2_b64 v1, v[18:19], v[8:9] offset0:16 offset1:84
	v_lshlrev_b64 v[18:19], 3, v[34:35]
	v_add_f32_e32 v11, v51, v11
	v_add_f32_e32 v21, v30, v47
	v_fmamk_f32 v30, v49, 0xbf5db3d7, v12
	v_fmamk_f32 v31, v53, 0x3f5db3d7, v13
	v_fmac_f32_e32 v12, 0x3f5db3d7, v49
	v_fmac_f32_e32 v13, 0xbf5db3d7, v53
	v_add_f32_e32 v14, v54, v80
	v_add_f32_e32 v15, v61, v15
	;; [unrolled: 1-line block ×3, first 2 shown]
	v_fmamk_f32 v32, v60, 0xbf5db3d7, v57
	v_fmamk_f32 v33, v71, 0x3f5db3d7, v58
	v_add_co_u32 v16, s0, s12, v65
	v_fmac_f32_e32 v57, 0x3f5db3d7, v60
	v_fmac_f32_e32 v58, 0xbf5db3d7, v71
	v_fmamk_f32 v4, v36, 0xbf5db3d7, v22
	v_fmamk_f32 v5, v38, 0x3f5db3d7, v23
	v_add_co_ci_u32_e64 v17, s0, s13, v66, s0
	v_fmac_f32_e32 v22, 0x3f5db3d7, v36
	v_fmac_f32_e32 v23, 0xbf5db3d7, v38
	ds_write2_b64 v50, v[10:11], v[30:31] offset0:100 offset1:168
	ds_write_b64 v45, v[12:13] offset:5984
	ds_write2_b64 v68, v[14:15], v[32:33] offset0:48 offset1:116
	ds_write_b64 v67, v[57:58] offset:7616
	;; [unrolled: 2-line block ×3, first 2 shown]
	v_add_co_u32 v30, s0, s12, v18
	v_add_co_ci_u32_e64 v31, s0, s13, v19, s0
	s_waitcnt lgkmcnt(0)
	s_barrier
	buffer_gl0_inv
	s_clause 0x5
	global_load_dwordx4 v[4:7], v[63:64], off offset:1616
	global_load_dwordx4 v[8:11], v[63:64], off offset:1632
	;; [unrolled: 1-line block ×6, first 2 shown]
	ds_read_b64 v[60:61], v27 offset:1632
	ds_read2_b64 v[34:37], v1 offset0:84 offset1:152
	ds_read2_b64 v[38:41], v0 offset0:100 offset1:168
	;; [unrolled: 1-line block ×3, first 2 shown]
	ds_read2_b32 v[62:63], v1 offset0:32 offset1:33
	ds_read2_b64 v[48:51], v2 offset0:92 offset1:160
	ds_read2_b64 v[52:55], v3 offset0:116 offset1:184
	ds_read_b64 v[64:65], v43
	ds_read2_b64 v[56:59], v27 offset0:68 offset1:136
	s_waitcnt vmcnt(0) lgkmcnt(0)
	s_barrier
	buffer_gl0_inv
	v_mul_f32_e32 v67, v9, v39
	v_mul_f32_e32 v43, v5, v61
	;; [unrolled: 1-line block ×24, first 2 shown]
	v_fmac_f32_e32 v43, v4, v60
	v_fma_f32 v4, v4, v61, -v5
	v_fmac_f32_e32 v66, v6, v36
	v_fma_f32 v5, v6, v37, -v7
	;; [unrolled: 2-line block ×7, first 2 shown]
	v_fmac_f32_e32 v72, v52, v18
	v_fmac_f32_e32 v73, v34, v20
	v_fma_f32 v8, v35, v20, -v21
	v_fmac_f32_e32 v74, v50, v22
	v_fma_f32 v11, v51, v22, -v23
	;; [unrolled: 2-line block ×3, first 2 shown]
	v_fma_f32 v38, v53, v18, -v19
	v_fmac_f32_e32 v76, v54, v32
	v_fma_f32 v35, v55, v32, -v33
	v_add_f32_e32 v10, v66, v67
	v_sub_f32_e32 v12, v43, v66
	v_sub_f32_e32 v13, v68, v67
	v_add_f32_e32 v14, v43, v68
	v_add_f32_e32 v18, v65, v4
	;; [unrolled: 1-line block ×4, first 2 shown]
	v_sub_f32_e32 v15, v66, v43
	v_sub_f32_e32 v16, v67, v68
	;; [unrolled: 1-line block ×4, first 2 shown]
	v_add_f32_e32 v40, v56, v69
	v_add_f32_e32 v41, v70, v71
	v_sub_f32_e32 v45, v69, v70
	v_add_f32_e32 v47, v69, v72
	v_sub_f32_e32 v48, v70, v69
	v_add_f32_e32 v50, v57, v6
	v_add_f32_e32 v51, v7, v17
	v_sub_f32_e32 v52, v69, v72
	v_add_f32_e32 v63, v58, v73
	v_add_f32_e32 v69, v74, v75
	;; [unrolled: 1-line block ×8, first 2 shown]
	v_sub_f32_e32 v31, v4, v37
	v_sub_f32_e32 v32, v5, v36
	;; [unrolled: 1-line block ×4, first 2 shown]
	v_fma_f32 v4, -0.5, v10, v64
	v_add_f32_e32 v92, v12, v13
	v_fma_f32 v64, -0.5, v14, v64
	v_add_f32_e32 v13, v18, v5
	v_fma_f32 v5, -0.5, v19, v65
	v_fmac_f32_e32 v65, -0.5, v23
	v_sub_f32_e32 v33, v43, v68
	v_sub_f32_e32 v43, v6, v38
	;; [unrolled: 1-line block ×14, first 2 shown]
	v_add_f32_e32 v93, v15, v16
	v_add_f32_e32 v94, v20, v22
	v_add_f32_e32 v16, v40, v70
	v_fma_f32 v6, -0.5, v41, v56
	v_add_f32_e32 v19, v50, v7
	v_fma_f32 v7, -0.5, v51, v57
	v_add_f32_e32 v20, v63, v74
	v_fma_f32 v10, -0.5, v69, v58
	v_add_f32_e32 v23, v84, v11
	v_fma_f32 v11, -0.5, v85, v59
	v_sub_f32_e32 v39, v36, v37
	v_sub_f32_e32 v53, v70, v71
	;; [unrolled: 1-line block ×3, first 2 shown]
	v_add_f32_e32 v66, v9, v66
	v_fma_f32 v8, -0.5, v47, v56
	v_fma_f32 v9, -0.5, v60, v57
	;; [unrolled: 1-line block ×3, first 2 shown]
	v_fmac_f32_e32 v59, -0.5, v89
	v_fmamk_f32 v14, v32, 0x3f737871, v64
	v_fmac_f32_e32 v64, 0xbf737871, v32
	v_fmamk_f32 v15, v34, 0xbf737871, v65
	v_fmac_f32_e32 v65, 0x3f737871, v34
	;; [unrolled: 2-line block ×3, first 2 shown]
	v_add_f32_e32 v36, v13, v36
	v_fmamk_f32 v13, v33, 0x3f737871, v5
	v_fmac_f32_e32 v5, 0xbf737871, v33
	v_sub_f32_e32 v49, v71, v72
	v_sub_f32_e32 v62, v17, v38
	;; [unrolled: 1-line block ×5, first 2 shown]
	v_add_f32_e32 v40, v45, v46
	v_add_f32_e32 v45, v54, v55
	;; [unrolled: 1-line block ×3, first 2 shown]
	v_fmamk_f32 v16, v43, 0xbf737871, v6
	v_add_f32_e32 v54, v19, v17
	v_fmamk_f32 v17, v52, 0x3f737871, v7
	v_add_f32_e32 v55, v20, v75
	;; [unrolled: 2-line block ×3, first 2 shown]
	v_fmamk_f32 v21, v73, 0x3f737871, v11
	v_sub_f32_e32 v83, v75, v76
	v_add_f32_e32 v39, v30, v39
	v_add_f32_e32 v30, v66, v67
	v_fmac_f32_e32 v6, 0x3f737871, v43
	v_fmamk_f32 v18, v44, 0x3f737871, v8
	v_fmac_f32_e32 v8, 0xbf737871, v44
	v_fmac_f32_e32 v7, 0xbf737871, v52
	v_fmamk_f32 v19, v53, 0xbf737871, v9
	v_fmac_f32_e32 v9, 0x3f737871, v53
	;; [unrolled: 3-line block ×4, first 2 shown]
	v_fmac_f32_e32 v14, 0xbf167918, v31
	v_fmac_f32_e32 v64, 0x3f167918, v31
	;; [unrolled: 1-line block ×8, first 2 shown]
	v_add_f32_e32 v41, v48, v49
	v_add_f32_e32 v47, v79, v80
	;; [unrolled: 1-line block ×3, first 2 shown]
	v_fmac_f32_e32 v16, 0xbf167918, v44
	v_fmac_f32_e32 v17, 0x3f167918, v53
	;; [unrolled: 1-line block ×4, first 2 shown]
	v_add_f32_e32 v46, v61, v62
	v_add_f32_e32 v48, v82, v83
	;; [unrolled: 1-line block ×6, first 2 shown]
	v_fmac_f32_e32 v6, 0x3f167918, v44
	v_fmac_f32_e32 v18, 0xbf167918, v43
	;; [unrolled: 1-line block ×3, first 2 shown]
	v_add_f32_e32 v33, v54, v38
	v_fmac_f32_e32 v7, 0xbf167918, v53
	v_fmac_f32_e32 v19, 0x3f167918, v52
	;; [unrolled: 1-line block ×15, first 2 shown]
	v_add_f32_e32 v34, v55, v76
	v_add_f32_e32 v35, v56, v35
	v_fmac_f32_e32 v12, 0x3e9e377a, v92
	v_fmac_f32_e32 v13, 0x3e9e377a, v94
	v_fmac_f32_e32 v16, 0x3e9e377a, v40
	v_fmac_f32_e32 v17, 0x3e9e377a, v45
	v_fmac_f32_e32 v20, 0x3e9e377a, v47
	v_fmac_f32_e32 v21, 0x3e9e377a, v49
	v_fmac_f32_e32 v6, 0x3e9e377a, v40
	v_fmac_f32_e32 v18, 0x3e9e377a, v41
	v_fmac_f32_e32 v8, 0x3e9e377a, v41
	v_fmac_f32_e32 v7, 0x3e9e377a, v45
	v_fmac_f32_e32 v19, 0x3e9e377a, v46
	v_fmac_f32_e32 v9, 0x3e9e377a, v46
	v_fmac_f32_e32 v10, 0x3e9e377a, v47
	v_fmac_f32_e32 v22, 0x3e9e377a, v48
	v_fmac_f32_e32 v58, 0x3e9e377a, v48
	v_fmac_f32_e32 v11, 0x3e9e377a, v49
	v_fmac_f32_e32 v23, 0x3e9e377a, v50
	v_fmac_f32_e32 v59, 0x3e9e377a, v50
	ds_write2_b64 v27, v[30:31], v[32:33] offset1:68
	ds_write2_b64 v2, v[14:15], v[64:65] offset0:24 offset1:228
	ds_write_b64 v27, v[4:5] offset:6528
	ds_write2_b64 v27, v[34:35], v[12:13] offset0:136 offset1:204
	ds_write2_b64 v1, v[16:17], v[20:21] offset0:16 offset1:84
	;; [unrolled: 1-line block ×5, first 2 shown]
	s_waitcnt lgkmcnt(0)
	s_barrier
	buffer_gl0_inv
	s_and_saveexec_b32 s0, vcc_lo
	s_cbranch_execz .LBB0_32
; %bb.31:
	v_mul_lo_u32 v2, s3, v28
	v_mul_lo_u32 v3, s2, v29
	v_mad_u64_u32 v[0:1], null, s2, v28, 0
	v_lshl_add_u32 v22, v26, 3, v42
	v_mov_b32_e32 v27, 0
	v_lshlrev_b64 v[4:5], 3, v[24:25]
	v_add_nc_u32_e32 v8, 0x44, v26
	v_add_nc_u32_e32 v10, 0x88, v26
	;; [unrolled: 1-line block ×3, first 2 shown]
	v_add3_u32 v1, v1, v3, v2
	v_mov_b32_e32 v9, v27
	v_lshlrev_b64 v[11:12], 3, v[26:27]
	v_mov_b32_e32 v13, v27
	v_add_nc_u32_e32 v16, 0x154, v26
	v_lshlrev_b64 v[6:7], 3, v[0:1]
	ds_read2_b64 v[0:3], v22 offset1:68
	v_mov_b32_e32 v17, v27
	v_add_nc_u32_e32 v20, 0x198, v26
	v_mov_b32_e32 v21, v27
	v_add_co_u32 v6, vcc_lo, s10, v6
	v_add_co_ci_u32_e32 v7, vcc_lo, s11, v7, vcc_lo
	v_lshlrev_b64 v[16:17], 3, v[16:17]
	v_add_co_u32 v23, vcc_lo, v6, v4
	v_add_co_ci_u32_e32 v24, vcc_lo, v7, v5, vcc_lo
	v_lshlrev_b64 v[4:5], 3, v[8:9]
	v_add_co_u32 v6, vcc_lo, v23, v11
	v_add_co_ci_u32_e32 v7, vcc_lo, v24, v12, vcc_lo
	v_mov_b32_e32 v11, v27
	v_add_co_u32 v4, vcc_lo, v23, v4
	v_add_co_ci_u32_e32 v5, vcc_lo, v24, v5, vcc_lo
	v_add_nc_u32_e32 v8, 0xcc, v26
	v_lshlrev_b64 v[10:11], 3, v[10:11]
	s_waitcnt lgkmcnt(0)
	global_store_dwordx2 v[6:7], v[0:1], off
	global_store_dwordx2 v[4:5], v[2:3], off
	ds_read2_b64 v[0:3], v22 offset0:136 offset1:204
	v_add_nc_u32_e32 v12, 0x110, v26
	v_lshlrev_b64 v[8:9], 3, v[8:9]
	ds_read2_b64 v[4:7], v25 offset0:16 offset1:84
	v_add_co_u32 v14, vcc_lo, v23, v10
	v_add_co_ci_u32_e32 v15, vcc_lo, v24, v11, vcc_lo
	v_lshlrev_b64 v[10:11], 3, v[12:13]
	v_add_co_u32 v12, vcc_lo, v23, v8
	v_add_co_ci_u32_e32 v13, vcc_lo, v24, v9, vcc_lo
	v_add_co_u32 v18, vcc_lo, v23, v10
	v_add_co_ci_u32_e32 v19, vcc_lo, v24, v11, vcc_lo
	ds_read2_b64 v[8:11], v25 offset0:152 offset1:220
	s_waitcnt lgkmcnt(2)
	global_store_dwordx2 v[14:15], v[0:1], off
	global_store_dwordx2 v[12:13], v[2:3], off
	s_waitcnt lgkmcnt(1)
	global_store_dwordx2 v[18:19], v[4:5], off
	v_lshlrev_b64 v[0:1], 3, v[20:21]
	v_add_co_u32 v2, vcc_lo, v23, v16
	v_add_co_ci_u32_e32 v3, vcc_lo, v24, v17, vcc_lo
	v_add_nc_u32_e32 v14, 0x1000, v22
	v_add_co_u32 v0, vcc_lo, v23, v0
	v_add_co_ci_u32_e32 v1, vcc_lo, v24, v1, vcc_lo
	v_add_nc_u32_e32 v4, 0x1dc, v26
	v_mov_b32_e32 v5, v27
	global_store_dwordx2 v[2:3], v[6:7], off
	s_waitcnt lgkmcnt(0)
	global_store_dwordx2 v[0:1], v[8:9], off
	v_add_nc_u32_e32 v12, 0x220, v26
	v_mov_b32_e32 v13, v27
	ds_read2_b64 v[0:3], v14 offset0:32 offset1:100
	v_lshlrev_b64 v[4:5], 3, v[4:5]
	v_add_nc_u32_e32 v8, 0x264, v26
	v_mov_b32_e32 v9, v27
	v_lshlrev_b64 v[6:7], 3, v[12:13]
	v_add_nc_u32_e32 v12, 0x2a8, v26
	v_mov_b32_e32 v15, v27
	v_add_co_u32 v4, vcc_lo, v23, v4
	v_lshlrev_b64 v[8:9], 3, v[8:9]
	v_add_co_ci_u32_e32 v5, vcc_lo, v24, v5, vcc_lo
	v_add_co_u32 v6, vcc_lo, v23, v6
	v_add_co_ci_u32_e32 v7, vcc_lo, v24, v7, vcc_lo
	v_add_co_u32 v8, vcc_lo, v23, v8
	v_add_co_ci_u32_e32 v9, vcc_lo, v24, v9, vcc_lo
	global_store_dwordx2 v[4:5], v[10:11], off
	s_waitcnt lgkmcnt(0)
	global_store_dwordx2 v[6:7], v[0:1], off
	global_store_dwordx2 v[8:9], v[2:3], off
	v_lshlrev_b64 v[4:5], 3, v[12:13]
	ds_read2_b64 v[0:3], v14 offset0:168 offset1:236
	v_add_nc_u32_e32 v6, 0x2ec, v26
	v_mov_b32_e32 v7, v27
	v_add_nc_u32_e32 v14, 0x1800, v22
	v_add_nc_u32_e32 v8, 0x330, v26
	v_mov_b32_e32 v9, v27
	v_add_co_u32 v10, vcc_lo, v23, v4
	v_add_co_ci_u32_e32 v11, vcc_lo, v24, v5, vcc_lo
	v_lshlrev_b64 v[12:13], 3, v[6:7]
	ds_read2_b64 v[4:7], v14 offset0:48 offset1:116
	v_add_nc_u32_e32 v14, 0x374, v26
	ds_read_b64 v[16:17], v22 offset:7616
	v_lshlrev_b64 v[8:9], 3, v[8:9]
	v_add_nc_u32_e32 v26, 0x3b8, v26
	v_add_co_u32 v12, vcc_lo, v23, v12
	v_lshlrev_b64 v[14:15], 3, v[14:15]
	v_add_co_ci_u32_e32 v13, vcc_lo, v24, v13, vcc_lo
	v_add_co_u32 v8, vcc_lo, v23, v8
	v_lshlrev_b64 v[18:19], 3, v[26:27]
	v_add_co_ci_u32_e32 v9, vcc_lo, v24, v9, vcc_lo
	v_add_co_u32 v14, vcc_lo, v23, v14
	v_add_co_ci_u32_e32 v15, vcc_lo, v24, v15, vcc_lo
	v_add_co_u32 v18, vcc_lo, v23, v18
	v_add_co_ci_u32_e32 v19, vcc_lo, v24, v19, vcc_lo
	s_waitcnt lgkmcnt(2)
	global_store_dwordx2 v[10:11], v[0:1], off
	global_store_dwordx2 v[12:13], v[2:3], off
	s_waitcnt lgkmcnt(1)
	global_store_dwordx2 v[8:9], v[4:5], off
	global_store_dwordx2 v[14:15], v[6:7], off
	s_waitcnt lgkmcnt(0)
	global_store_dwordx2 v[18:19], v[16:17], off
.LBB0_32:
	s_endpgm
	.section	.rodata,"a",@progbits
	.p2align	6, 0x0
	.amdhsa_kernel fft_rtc_back_len1020_factors_2_17_2_3_5_wgs_204_tpt_68_halfLds_sp_op_CI_CI_unitstride_sbrr_C2R_dirReg
		.amdhsa_group_segment_fixed_size 0
		.amdhsa_private_segment_fixed_size 0
		.amdhsa_kernarg_size 104
		.amdhsa_user_sgpr_count 6
		.amdhsa_user_sgpr_private_segment_buffer 1
		.amdhsa_user_sgpr_dispatch_ptr 0
		.amdhsa_user_sgpr_queue_ptr 0
		.amdhsa_user_sgpr_kernarg_segment_ptr 1
		.amdhsa_user_sgpr_dispatch_id 0
		.amdhsa_user_sgpr_flat_scratch_init 0
		.amdhsa_user_sgpr_private_segment_size 0
		.amdhsa_wavefront_size32 1
		.amdhsa_uses_dynamic_stack 0
		.amdhsa_system_sgpr_private_segment_wavefront_offset 0
		.amdhsa_system_sgpr_workgroup_id_x 1
		.amdhsa_system_sgpr_workgroup_id_y 0
		.amdhsa_system_sgpr_workgroup_id_z 0
		.amdhsa_system_sgpr_workgroup_info 0
		.amdhsa_system_vgpr_workitem_id 0
		.amdhsa_next_free_vgpr 183
		.amdhsa_next_free_sgpr 27
		.amdhsa_reserve_vcc 1
		.amdhsa_reserve_flat_scratch 0
		.amdhsa_float_round_mode_32 0
		.amdhsa_float_round_mode_16_64 0
		.amdhsa_float_denorm_mode_32 3
		.amdhsa_float_denorm_mode_16_64 3
		.amdhsa_dx10_clamp 1
		.amdhsa_ieee_mode 1
		.amdhsa_fp16_overflow 0
		.amdhsa_workgroup_processor_mode 1
		.amdhsa_memory_ordered 1
		.amdhsa_forward_progress 0
		.amdhsa_shared_vgpr_count 0
		.amdhsa_exception_fp_ieee_invalid_op 0
		.amdhsa_exception_fp_denorm_src 0
		.amdhsa_exception_fp_ieee_div_zero 0
		.amdhsa_exception_fp_ieee_overflow 0
		.amdhsa_exception_fp_ieee_underflow 0
		.amdhsa_exception_fp_ieee_inexact 0
		.amdhsa_exception_int_div_zero 0
	.end_amdhsa_kernel
	.text
.Lfunc_end0:
	.size	fft_rtc_back_len1020_factors_2_17_2_3_5_wgs_204_tpt_68_halfLds_sp_op_CI_CI_unitstride_sbrr_C2R_dirReg, .Lfunc_end0-fft_rtc_back_len1020_factors_2_17_2_3_5_wgs_204_tpt_68_halfLds_sp_op_CI_CI_unitstride_sbrr_C2R_dirReg
                                        ; -- End function
	.section	.AMDGPU.csdata,"",@progbits
; Kernel info:
; codeLenInByte = 13704
; NumSgprs: 29
; NumVgprs: 183
; ScratchSize: 0
; MemoryBound: 0
; FloatMode: 240
; IeeeMode: 1
; LDSByteSize: 0 bytes/workgroup (compile time only)
; SGPRBlocks: 3
; VGPRBlocks: 22
; NumSGPRsForWavesPerEU: 29
; NumVGPRsForWavesPerEU: 183
; Occupancy: 5
; WaveLimiterHint : 1
; COMPUTE_PGM_RSRC2:SCRATCH_EN: 0
; COMPUTE_PGM_RSRC2:USER_SGPR: 6
; COMPUTE_PGM_RSRC2:TRAP_HANDLER: 0
; COMPUTE_PGM_RSRC2:TGID_X_EN: 1
; COMPUTE_PGM_RSRC2:TGID_Y_EN: 0
; COMPUTE_PGM_RSRC2:TGID_Z_EN: 0
; COMPUTE_PGM_RSRC2:TIDIG_COMP_CNT: 0
	.text
	.p2alignl 6, 3214868480
	.fill 48, 4, 3214868480
	.type	__hip_cuid_3fcfeaedb297a12,@object ; @__hip_cuid_3fcfeaedb297a12
	.section	.bss,"aw",@nobits
	.globl	__hip_cuid_3fcfeaedb297a12
__hip_cuid_3fcfeaedb297a12:
	.byte	0                               ; 0x0
	.size	__hip_cuid_3fcfeaedb297a12, 1

	.ident	"AMD clang version 19.0.0git (https://github.com/RadeonOpenCompute/llvm-project roc-6.4.0 25133 c7fe45cf4b819c5991fe208aaa96edf142730f1d)"
	.section	".note.GNU-stack","",@progbits
	.addrsig
	.addrsig_sym __hip_cuid_3fcfeaedb297a12
	.amdgpu_metadata
---
amdhsa.kernels:
  - .args:
      - .actual_access:  read_only
        .address_space:  global
        .offset:         0
        .size:           8
        .value_kind:     global_buffer
      - .offset:         8
        .size:           8
        .value_kind:     by_value
      - .actual_access:  read_only
        .address_space:  global
        .offset:         16
        .size:           8
        .value_kind:     global_buffer
      - .actual_access:  read_only
        .address_space:  global
        .offset:         24
        .size:           8
        .value_kind:     global_buffer
      - .actual_access:  read_only
        .address_space:  global
        .offset:         32
        .size:           8
        .value_kind:     global_buffer
      - .offset:         40
        .size:           8
        .value_kind:     by_value
      - .actual_access:  read_only
        .address_space:  global
        .offset:         48
        .size:           8
        .value_kind:     global_buffer
      - .actual_access:  read_only
        .address_space:  global
        .offset:         56
        .size:           8
        .value_kind:     global_buffer
      - .offset:         64
        .size:           4
        .value_kind:     by_value
      - .actual_access:  read_only
        .address_space:  global
        .offset:         72
        .size:           8
        .value_kind:     global_buffer
      - .actual_access:  read_only
        .address_space:  global
        .offset:         80
        .size:           8
        .value_kind:     global_buffer
      - .actual_access:  read_only
        .address_space:  global
        .offset:         88
        .size:           8
        .value_kind:     global_buffer
      - .actual_access:  write_only
        .address_space:  global
        .offset:         96
        .size:           8
        .value_kind:     global_buffer
    .group_segment_fixed_size: 0
    .kernarg_segment_align: 8
    .kernarg_segment_size: 104
    .language:       OpenCL C
    .language_version:
      - 2
      - 0
    .max_flat_workgroup_size: 204
    .name:           fft_rtc_back_len1020_factors_2_17_2_3_5_wgs_204_tpt_68_halfLds_sp_op_CI_CI_unitstride_sbrr_C2R_dirReg
    .private_segment_fixed_size: 0
    .sgpr_count:     29
    .sgpr_spill_count: 0
    .symbol:         fft_rtc_back_len1020_factors_2_17_2_3_5_wgs_204_tpt_68_halfLds_sp_op_CI_CI_unitstride_sbrr_C2R_dirReg.kd
    .uniform_work_group_size: 1
    .uses_dynamic_stack: false
    .vgpr_count:     183
    .vgpr_spill_count: 0
    .wavefront_size: 32
    .workgroup_processor_mode: 1
amdhsa.target:   amdgcn-amd-amdhsa--gfx1030
amdhsa.version:
  - 1
  - 2
...

	.end_amdgpu_metadata
